;; amdgpu-corpus repo=ROCm/rocBLAS kind=compiled arch=gfx1201 opt=O3
	.amdgcn_target "amdgcn-amd-amdhsa--gfx1201"
	.amdhsa_code_object_version 6
	.section	.text._ZL18rocblas_trtri_fillILi128EfPfEvP15_rocblas_handle13rocblas_fill_ililT1_llii,"axG",@progbits,_ZL18rocblas_trtri_fillILi128EfPfEvP15_rocblas_handle13rocblas_fill_ililT1_llii,comdat
	.globl	_ZL18rocblas_trtri_fillILi128EfPfEvP15_rocblas_handle13rocblas_fill_ililT1_llii ; -- Begin function _ZL18rocblas_trtri_fillILi128EfPfEvP15_rocblas_handle13rocblas_fill_ililT1_llii
	.p2align	8
	.type	_ZL18rocblas_trtri_fillILi128EfPfEvP15_rocblas_handle13rocblas_fill_ililT1_llii,@function
_ZL18rocblas_trtri_fillILi128EfPfEvP15_rocblas_handle13rocblas_fill_ililT1_llii: ; @_ZL18rocblas_trtri_fillILi128EfPfEvP15_rocblas_handle13rocblas_fill_ililT1_llii
; %bb.0:
	s_load_b64 s[2:3], s[0:1], 0x40
	s_lshr_b32 s16, ttmp7, 16
	s_wait_kmcnt 0x0
	s_cmp_ge_u32 s16, s3
	s_cbranch_scc1 .LBB0_17
; %bb.1:
	s_clause 0x2
	s_load_b128 s[12:15], s[0:1], 0x8
	s_load_b32 s20, s[0:1], 0x18
	s_load_b256 s[4:11], s[0:1], 0x20
	s_ashr_i32 s23, s2, 31
	s_mov_b32 s22, s2
	s_mov_b32 s18, ttmp9
	s_add_nc_u64 s[30:31], s[0:1], 0x48
	s_wait_kmcnt 0x0
	v_cvt_f32_u32_e32 v1, s14
	s_add_co_i32 s17, s13, -2
	s_cvt_f32_u32 s19, s15
	s_lshl_b64 s[26:27], s[8:9], 2
	s_sub_co_i32 s8, 0, s14
	v_rcp_iflag_f32_e32 v3, v1
	v_cvt_f64_i32_e32 v[1:2], s17
	s_cvt_f32_u32 s17, s14
	s_ashr_i32 s9, s13, 31
	s_add_co_i32 s28, s13, -1
	s_mul_u64 s[22:23], s[14:15], s[22:23]
	s_wait_alu 0xfffe
	s_fmamk_f32 s2, s19, 0x4f800000, s17
	s_mov_b32 s19, 0
	s_ashr_i32 s29, s28, 31
	s_lshl_b64 s[24:25], s[18:19], 7
	v_mul_f32_e32 v4, 0x4f7ffffe, v3
	v_s_rcp_f32 s2, s2
	v_or_b32_e32 v3, s24, v0
	s_add_nc_u64 s[6:7], s[6:7], s[26:27]
	s_ashr_i32 s21, s20, 31
	v_cvt_u32_f32_e32 v0, v4
	v_mov_b32_e32 v4, s25
	s_sub_nc_u64 s[34:35], 0, s[14:15]
	s_mul_f32 s17, s2, 0x5f7ffffc
	s_delay_alu instid0(VALU_DEP_2) | instskip(SKIP_4) | instid1(SALU_CYCLE_1)
	v_mul_lo_u32 v5, s8, v0
	s_mov_b32 s8, s13
	s_wait_alu 0xfffe
	s_mul_f32 s2, s17, 0x2f800000
	s_mul_u64 s[28:29], s[28:29], s[8:9]
	s_lshl_b64 s[24:25], s[28:29], 2
	s_wait_alu 0xfffe
	s_trunc_f32 s13, s2
	v_cmp_gt_u64_e64 s2, s[22:23], v[3:4]
	v_mul_hi_u32 v6, v0, v5
	v_mov_b32_e32 v5, 0
	s_fmamk_f32 s17, s13, 0xcf800000, s17
	s_lshr_b64 s[26:27], s[28:29], 1
	s_cvt_u32_f32 s29, s13
	s_add_nc_u64 s[24:25], s[24:25], -7
	s_wait_alu 0xfffe
	s_cvt_u32_f32 s28, s17
	v_add_nc_u32_e32 v0, v0, v6
	s_branch .LBB0_3
.LBB0_2:                                ;   in Loop: Header=BB0_3 Depth=1
	s_wait_alu 0xfffe
	s_or_b32 exec_lo, exec_lo, s1
	s_add_co_i32 s16, s16, 0x10000
	s_wait_alu 0xfffe
	s_cmp_lt_u32 s16, s3
	s_cbranch_scc0 .LBB0_17
.LBB0_3:                                ; =>This Loop Header: Depth=1
                                        ;     Child Loop BB0_6 Depth 2
	s_and_saveexec_b32 s1, s2
	s_cbranch_execz .LBB0_2
; %bb.4:                                ;   in Loop: Header=BB0_3 Depth=1
	s_clause 0x1
	s_load_b32 s0, s[30:31], 0xc
	s_load_b32 s18, s[30:31], 0x0
	s_mov_b32 s17, s19
	v_dual_mov_b32 v8, v4 :: v_dual_mov_b32 v7, v3
	s_wait_alu 0xfffe
	s_mul_u64 s[38:39], s[10:11], s[16:17]
	s_mov_b32 s37, s19
	s_wait_alu 0xfffe
	s_lshl_b64 s[38:39], s[38:39], 2
	s_mov_b32 s13, 0
	s_wait_alu 0xfffe
	s_add_nc_u64 s[38:39], s[6:7], s[38:39]
	s_wait_kmcnt 0x0
	s_and_b32 s36, s0, 0xffff
	s_wait_alu 0xfffe
	s_mul_u64 s[36:37], s[36:37], s[18:19]
	s_branch .LBB0_6
.LBB0_5:                                ;   in Loop: Header=BB0_6 Depth=2
	v_add_co_u32 v7, vcc_lo, v7, s36
	s_wait_alu 0xfffd
	v_add_co_ci_u32_e64 v8, null, s37, v8, vcc_lo
	s_delay_alu instid0(VALU_DEP_1) | instskip(SKIP_1) | instid1(SALU_CYCLE_1)
	v_cmp_le_u64_e32 vcc_lo, s[22:23], v[7:8]
	s_or_b32 s13, vcc_lo, s13
	s_and_not1_b32 exec_lo, exec_lo, s13
	s_cbranch_execz .LBB0_2
.LBB0_6:                                ;   Parent Loop BB0_3 Depth=1
                                        ; =>  This Inner Loop Header: Depth=2
	v_or_b32_e32 v6, s15, v8
                                        ; implicit-def: $vgpr9_vgpr10
	s_mov_b32 s0, exec_lo
	s_delay_alu instid0(VALU_DEP_1)
	v_cmpx_ne_u64_e32 0, v[5:6]
	s_wait_alu 0xfffe
	s_xor_b32 s17, exec_lo, s0
	s_cbranch_execz .LBB0_8
; %bb.7:                                ;   in Loop: Header=BB0_6 Depth=2
	s_mul_u64 s[40:41], s[34:35], s[28:29]
	s_delay_alu instid0(SALU_CYCLE_1)
	s_mul_hi_u32 s43, s28, s41
	s_mul_i32 s42, s28, s41
	s_mul_hi_u32 s18, s28, s40
	s_mul_hi_u32 s0, s29, s40
	s_wait_alu 0xfffe
	s_add_nc_u64 s[42:43], s[18:19], s[42:43]
	s_mul_i32 s18, s29, s40
	s_mul_hi_u32 s33, s29, s41
	s_wait_alu 0xfffe
	s_add_co_u32 s18, s42, s18
	s_add_co_ci_u32 s18, s43, s0
	s_add_co_ci_u32 s43, s33, 0
	s_mul_i32 s42, s29, s41
	s_wait_alu 0xfffe
	s_add_nc_u64 s[40:41], s[18:19], s[42:43]
	s_delay_alu instid0(SALU_CYCLE_1) | instskip(SKIP_4) | instid1(SALU_CYCLE_1)
	s_add_co_u32 s40, s28, s40
	s_cselect_b32 s0, -1, 0
	s_wait_alu 0xfffe
	s_cmp_lg_u32 s0, 0
	s_add_co_ci_u32 s41, s29, s41
	s_mul_u64 s[42:43], s[34:35], s[40:41]
	s_delay_alu instid0(SALU_CYCLE_1)
	s_mul_hi_u32 s45, s40, s43
	s_mul_i32 s44, s40, s43
	s_mul_hi_u32 s18, s40, s42
	s_mul_i32 s33, s41, s42
	s_wait_alu 0xfffe
	s_add_nc_u64 s[44:45], s[18:19], s[44:45]
	s_mul_hi_u32 s0, s41, s42
	s_mul_hi_u32 s46, s41, s43
	s_add_co_u32 s18, s44, s33
	s_wait_alu 0xfffe
	s_add_co_ci_u32 s18, s45, s0
	s_mul_i32 s42, s41, s43
	s_add_co_ci_u32 s43, s46, 0
	s_wait_alu 0xfffe
	s_add_nc_u64 s[42:43], s[18:19], s[42:43]
	s_delay_alu instid0(SALU_CYCLE_1)
	s_add_co_u32 s0, s40, s42
	s_cselect_b32 s18, -1, 0
	s_wait_alu 0xfffe
	v_mul_hi_u32 v6, v7, s0
	s_cmp_lg_u32 s18, 0
	v_mad_co_u64_u32 v[11:12], null, v8, s0, 0
	s_add_co_ci_u32 s18, s41, s43
	s_wait_alu 0xfffe
	v_mad_co_u64_u32 v[9:10], null, v7, s18, 0
	v_mad_co_u64_u32 v[13:14], null, v8, s18, 0
	s_delay_alu instid0(VALU_DEP_2) | instskip(SKIP_1) | instid1(VALU_DEP_3)
	v_add_co_u32 v6, vcc_lo, v6, v9
	s_wait_alu 0xfffd
	v_add_co_ci_u32_e64 v9, null, 0, v10, vcc_lo
	s_delay_alu instid0(VALU_DEP_2) | instskip(SKIP_1) | instid1(VALU_DEP_2)
	v_add_co_u32 v6, vcc_lo, v6, v11
	s_wait_alu 0xfffd
	v_add_co_ci_u32_e32 v6, vcc_lo, v9, v12, vcc_lo
	s_wait_alu 0xfffd
	v_add_co_ci_u32_e32 v9, vcc_lo, 0, v14, vcc_lo
	s_delay_alu instid0(VALU_DEP_2) | instskip(SKIP_1) | instid1(VALU_DEP_2)
	v_add_co_u32 v6, vcc_lo, v6, v13
	s_wait_alu 0xfffd
	v_add_co_ci_u32_e64 v11, null, 0, v9, vcc_lo
	s_delay_alu instid0(VALU_DEP_2) | instskip(SKIP_1) | instid1(VALU_DEP_3)
	v_mul_lo_u32 v12, s15, v6
	v_mad_co_u64_u32 v[9:10], null, s14, v6, 0
	v_mul_lo_u32 v13, s14, v11
	s_delay_alu instid0(VALU_DEP_2) | instskip(NEXT) | instid1(VALU_DEP_2)
	v_sub_co_u32 v9, vcc_lo, v7, v9
	v_add3_u32 v10, v10, v13, v12
	v_add_co_u32 v13, s0, v6, 2
	s_wait_alu 0xf1ff
	v_add_co_ci_u32_e64 v14, null, 0, v11, s0
	s_delay_alu instid0(VALU_DEP_3) | instskip(SKIP_3) | instid1(VALU_DEP_3)
	v_sub_nc_u32_e32 v12, v8, v10
	v_sub_co_u32 v15, s0, v9, s14
	s_wait_alu 0xfffd
	v_sub_co_ci_u32_e64 v10, null, v8, v10, vcc_lo
	v_subrev_co_ci_u32_e64 v12, null, s15, v12, vcc_lo
	s_delay_alu instid0(VALU_DEP_3) | instskip(SKIP_1) | instid1(VALU_DEP_2)
	v_cmp_le_u32_e32 vcc_lo, s14, v15
	s_wait_alu 0xf1ff
	v_subrev_co_ci_u32_e64 v12, null, 0, v12, s0
	s_wait_alu 0xfffd
	v_cndmask_b32_e64 v15, 0, -1, vcc_lo
	v_cmp_eq_u32_e64 s0, s15, v10
	s_delay_alu instid0(VALU_DEP_3)
	v_cmp_le_u32_e32 vcc_lo, s15, v12
	s_wait_alu 0xfffd
	v_cndmask_b32_e64 v16, 0, -1, vcc_lo
	v_cmp_le_u32_e32 vcc_lo, s14, v9
	s_wait_alu 0xfffd
	v_cndmask_b32_e64 v9, 0, -1, vcc_lo
	;; [unrolled: 3-line block ×3, first 2 shown]
	v_cmp_eq_u32_e32 vcc_lo, s15, v12
	s_wait_alu 0xf1ff
	s_delay_alu instid0(VALU_DEP_2)
	v_cndmask_b32_e64 v9, v17, v9, s0
	s_wait_alu 0xfffd
	v_cndmask_b32_e32 v12, v16, v15, vcc_lo
	v_add_co_u32 v15, vcc_lo, v6, 1
	s_wait_alu 0xfffd
	v_add_co_ci_u32_e64 v16, null, 0, v11, vcc_lo
	s_delay_alu instid0(VALU_DEP_3) | instskip(SKIP_2) | instid1(VALU_DEP_3)
	v_cmp_ne_u32_e32 vcc_lo, 0, v12
	s_wait_alu 0xfffd
	v_cndmask_b32_e32 v12, v15, v13, vcc_lo
	v_cndmask_b32_e32 v10, v16, v14, vcc_lo
	v_cmp_ne_u32_e32 vcc_lo, 0, v9
	s_wait_alu 0xfffd
	s_delay_alu instid0(VALU_DEP_2)
	v_dual_cndmask_b32 v9, v6, v12 :: v_dual_cndmask_b32 v10, v11, v10
.LBB0_8:                                ;   in Loop: Header=BB0_6 Depth=2
	s_wait_alu 0xfffe
	s_and_not1_saveexec_b32 s0, s17
	s_cbranch_execz .LBB0_10
; %bb.9:                                ;   in Loop: Header=BB0_6 Depth=2
	v_mul_hi_u32 v6, v7, v0
	s_delay_alu instid0(VALU_DEP_1) | instskip(NEXT) | instid1(VALU_DEP_1)
	v_mul_lo_u32 v9, v6, s14
	v_sub_nc_u32_e32 v9, v7, v9
	s_delay_alu instid0(VALU_DEP_1) | instskip(SKIP_2) | instid1(VALU_DEP_2)
	v_subrev_nc_u32_e32 v11, s14, v9
	v_cmp_le_u32_e32 vcc_lo, s14, v9
	s_wait_alu 0xfffd
	v_dual_cndmask_b32 v9, v9, v11 :: v_dual_add_nc_u32 v10, 1, v6
	s_delay_alu instid0(VALU_DEP_1) | instskip(NEXT) | instid1(VALU_DEP_2)
	v_cndmask_b32_e32 v6, v6, v10, vcc_lo
	v_cmp_le_u32_e32 vcc_lo, s14, v9
	s_delay_alu instid0(VALU_DEP_2) | instskip(SKIP_1) | instid1(VALU_DEP_1)
	v_add_nc_u32_e32 v10, 1, v6
	s_wait_alu 0xfffd
	v_dual_cndmask_b32 v9, v6, v10 :: v_dual_mov_b32 v10, v5
.LBB0_10:                               ;   in Loop: Header=BB0_6 Depth=2
	s_wait_alu 0xfffe
	s_or_b32 exec_lo, exec_lo, s0
	s_delay_alu instid0(VALU_DEP_1) | instskip(NEXT) | instid1(VALU_DEP_2)
	v_mul_lo_u32 v6, v10, s14
	v_mul_lo_u32 v13, v9, s15
	v_mad_co_u64_u32 v[11:12], null, v9, s14, 0
	s_cmp_lt_i32 s12, 0x7a
	s_mov_b32 s0, -1
	v_add3_u32 v6, v12, v13, v6
	v_sub_co_u32 v11, vcc_lo, v7, v11
	s_wait_alu 0xfffd
	s_delay_alu instid0(VALU_DEP_2)
	v_sub_co_ci_u32_e64 v12, null, v8, v6, vcc_lo
	s_cbranch_scc1 .LBB0_14
; %bb.11:                               ;   in Loop: Header=BB0_6 Depth=2
	s_cmp_eq_u32 s12, 0x7a
	s_cbranch_scc0 .LBB0_13
; %bb.12:                               ;   in Loop: Header=BB0_6 Depth=2
	v_lshlrev_b64_e32 v[13:14], 3, v[11:12]
	s_delay_alu instid0(VALU_DEP_1) | instskip(SKIP_1) | instid1(VALU_DEP_2)
	v_sub_co_u32 v6, vcc_lo, s24, v13
	s_wait_alu 0xfffd
	v_sub_co_ci_u32_e64 v13, null, s25, v14, vcc_lo
	s_delay_alu instid0(VALU_DEP_2) | instskip(NEXT) | instid1(VALU_DEP_2)
	v_cvt_f64_u32_e32 v[15:16], v6
	v_cvt_f64_u32_e32 v[13:14], v13
	s_delay_alu instid0(VALU_DEP_1) | instskip(NEXT) | instid1(VALU_DEP_1)
	v_ldexp_f64 v[13:14], v[13:14], 32
	v_add_f64_e32 v[13:14], v[13:14], v[15:16]
	s_delay_alu instid0(VALU_DEP_1) | instskip(SKIP_2) | instid1(VALU_DEP_1)
	v_cmp_gt_f64_e32 vcc_lo, 0x10000000, v[13:14]
	s_wait_alu 0xfffd
	v_cndmask_b32_e64 v6, 0, 0x100, vcc_lo
	v_ldexp_f64 v[13:14], v[13:14], v6
	v_cndmask_b32_e64 v6, 0, 0xffffff80, vcc_lo
	s_delay_alu instid0(VALU_DEP_2) | instskip(SKIP_1) | instid1(TRANS32_DEP_1)
	v_rsq_f64_e32 v[15:16], v[13:14]
	v_cmp_class_f64_e64 vcc_lo, v[13:14], 0x260
	v_mul_f64_e32 v[17:18], v[13:14], v[15:16]
	v_mul_f64_e32 v[15:16], 0.5, v[15:16]
	s_delay_alu instid0(VALU_DEP_1) | instskip(NEXT) | instid1(VALU_DEP_1)
	v_fma_f64 v[19:20], -v[15:16], v[17:18], 0.5
	v_fma_f64 v[17:18], v[17:18], v[19:20], v[17:18]
	v_fma_f64 v[15:16], v[15:16], v[19:20], v[15:16]
	s_delay_alu instid0(VALU_DEP_2) | instskip(NEXT) | instid1(VALU_DEP_1)
	v_fma_f64 v[19:20], -v[17:18], v[17:18], v[13:14]
	v_fma_f64 v[17:18], v[19:20], v[15:16], v[17:18]
	s_delay_alu instid0(VALU_DEP_1) | instskip(NEXT) | instid1(VALU_DEP_1)
	v_fma_f64 v[19:20], -v[17:18], v[17:18], v[13:14]
	v_fma_f64 v[15:16], v[19:20], v[15:16], v[17:18]
	s_delay_alu instid0(VALU_DEP_1) | instskip(SKIP_2) | instid1(VALU_DEP_2)
	v_ldexp_f64 v[15:16], v[15:16], v6
	v_mul_lo_u32 v6, v10, s4
	s_wait_alu 0xfffd
	v_dual_cndmask_b32 v14, v16, v14 :: v_dual_cndmask_b32 v13, v15, v13
	s_delay_alu instid0(VALU_DEP_1) | instskip(NEXT) | instid1(VALU_DEP_1)
	v_fma_f64 v[13:14], v[13:14], 0.5, -0.5
	v_floor_f64_e32 v[13:14], v[13:14]
	s_delay_alu instid0(VALU_DEP_1) | instskip(NEXT) | instid1(VALU_DEP_1)
	v_add_f64_e64 v[13:14], v[1:2], -v[13:14]
	v_trunc_f64_e32 v[13:14], v[13:14]
	s_delay_alu instid0(VALU_DEP_1) | instskip(NEXT) | instid1(VALU_DEP_1)
	v_ldexp_f64 v[15:16], v[13:14], 0xffffffe0
	v_floor_f64_e32 v[15:16], v[15:16]
	s_delay_alu instid0(VALU_DEP_1) | instskip(SKIP_2) | instid1(VALU_DEP_3)
	v_fma_f64 v[13:14], 0xc1f00000, v[15:16], v[13:14]
	v_cvt_u32_f64_e32 v15, v[15:16]
	v_mad_co_u64_u32 v[16:17], null, v9, s4, 0
	v_cvt_u32_f64_e32 v14, v[13:14]
	v_mul_lo_u32 v13, v9, s5
	s_delay_alu instid0(VALU_DEP_1) | instskip(SKIP_1) | instid1(VALU_DEP_2)
	v_add3_u32 v17, v17, v13, v6
	v_mul_lo_u32 v6, v15, s20
	v_lshlrev_b64_e32 v[16:17], 2, v[16:17]
	v_sub_co_u32 v13, vcc_lo, s8, v14
	s_wait_alu 0xfffd
	v_sub_co_ci_u32_e64 v22, null, s9, v15, vcc_lo
	v_mul_lo_u32 v23, v14, s21
	v_mad_co_u64_u32 v[18:19], null, v14, s20, 0
	v_add_co_u32 v24, vcc_lo, v13, -1
	s_wait_alu 0xfffd
	v_add_co_ci_u32_e64 v25, null, -1, v22, vcc_lo
	v_sub_co_u32 v20, vcc_lo, v11, s26
	s_delay_alu instid0(VALU_DEP_4) | instskip(NEXT) | instid1(VALU_DEP_3)
	v_add3_u32 v19, v19, v23, v6
	v_mul_lo_u32 v6, v25, v13
	v_mul_lo_u32 v25, v24, v22
	v_mad_co_u64_u32 v[22:23], null, v24, v13, 0
	s_wait_alu 0xfffd
	v_subrev_co_ci_u32_e64 v21, null, s27, v12, vcc_lo
	v_lshlrev_b64_e32 v[18:19], 2, v[18:19]
	v_add_co_u32 v13, vcc_lo, s38, v16
	s_wait_alu 0xfffd
	v_add_co_ci_u32_e64 v16, null, s39, v17, vcc_lo
	v_lshlrev_b64_e32 v[20:21], 2, v[20:21]
	v_add3_u32 v23, v23, v25, v6
	v_add_co_u32 v6, vcc_lo, v13, v18
	s_wait_alu 0xfffd
	v_add_co_ci_u32_e64 v18, null, v16, v19, vcc_lo
	s_delay_alu instid0(VALU_DEP_3) | instskip(SKIP_4) | instid1(VALU_DEP_4)
	v_lshlrev_b64_e32 v[16:17], 1, v[22:23]
	v_lshlrev_b64_e32 v[13:14], 2, v[14:15]
	v_add_co_u32 v6, vcc_lo, v6, v20
	s_wait_alu 0xfffd
	v_add_co_ci_u32_e64 v15, null, v18, v21, vcc_lo
	v_and_b32_e32 v16, -4, v16
	s_delay_alu instid0(VALU_DEP_3) | instskip(SKIP_1) | instid1(VALU_DEP_3)
	v_add_co_u32 v6, vcc_lo, v6, v13
	s_wait_alu 0xfffd
	v_add_co_ci_u32_e64 v14, null, v15, v14, vcc_lo
	s_delay_alu instid0(VALU_DEP_2) | instskip(SKIP_1) | instid1(VALU_DEP_2)
	v_add_co_u32 v13, vcc_lo, v6, v16
	s_wait_alu 0xfffd
	v_add_co_ci_u32_e64 v14, null, v14, v17, vcc_lo
	global_store_b32 v[13:14], v5, off offset:4
.LBB0_13:                               ;   in Loop: Header=BB0_6 Depth=2
	s_mov_b32 s0, 0
.LBB0_14:                               ;   in Loop: Header=BB0_6 Depth=2
	s_wait_alu 0xfffe
	s_and_not1_b32 vcc_lo, exec_lo, s0
	s_wait_alu 0xfffe
	s_cbranch_vccnz .LBB0_5
; %bb.15:                               ;   in Loop: Header=BB0_6 Depth=2
	s_cmp_lg_u32 s12, 0x79
	s_cbranch_scc1 .LBB0_5
; %bb.16:                               ;   in Loop: Header=BB0_6 Depth=2
	v_lshlrev_b64_e32 v[13:14], 3, v[11:12]
	s_delay_alu instid0(VALU_DEP_1) | instskip(NEXT) | instid1(VALU_DEP_2)
	v_cvt_f64_u32_e32 v[14:15], v14
	v_or_b32_e32 v6, 1, v13
	s_delay_alu instid0(VALU_DEP_1) | instskip(NEXT) | instid1(VALU_DEP_3)
	v_cvt_f64_u32_e32 v[16:17], v6
	v_ldexp_f64 v[13:14], v[14:15], 32
	s_delay_alu instid0(VALU_DEP_1) | instskip(NEXT) | instid1(VALU_DEP_1)
	v_add_f64_e32 v[13:14], v[13:14], v[16:17]
	v_cmp_gt_f64_e32 vcc_lo, 0x10000000, v[13:14]
	s_wait_alu 0xfffd
	v_cndmask_b32_e64 v6, 0, 0x100, vcc_lo
	s_delay_alu instid0(VALU_DEP_1) | instskip(SKIP_1) | instid1(VALU_DEP_2)
	v_ldexp_f64 v[13:14], v[13:14], v6
	v_cndmask_b32_e64 v6, 0, 0xffffff80, vcc_lo
	v_rsq_f64_e32 v[15:16], v[13:14]
	v_cmp_class_f64_e64 vcc_lo, v[13:14], 0x260
	s_delay_alu instid0(TRANS32_DEP_1) | instskip(SKIP_1) | instid1(VALU_DEP_1)
	v_mul_f64_e32 v[17:18], v[13:14], v[15:16]
	v_mul_f64_e32 v[15:16], 0.5, v[15:16]
	v_fma_f64 v[19:20], -v[15:16], v[17:18], 0.5
	s_delay_alu instid0(VALU_DEP_1) | instskip(SKIP_1) | instid1(VALU_DEP_2)
	v_fma_f64 v[17:18], v[17:18], v[19:20], v[17:18]
	v_fma_f64 v[15:16], v[15:16], v[19:20], v[15:16]
	v_fma_f64 v[19:20], -v[17:18], v[17:18], v[13:14]
	s_delay_alu instid0(VALU_DEP_1) | instskip(NEXT) | instid1(VALU_DEP_1)
	v_fma_f64 v[17:18], v[19:20], v[15:16], v[17:18]
	v_fma_f64 v[19:20], -v[17:18], v[17:18], v[13:14]
	s_delay_alu instid0(VALU_DEP_1) | instskip(SKIP_1) | instid1(VALU_DEP_2)
	v_fma_f64 v[15:16], v[19:20], v[15:16], v[17:18]
	v_mul_lo_u32 v18, v9, s5
	v_ldexp_f64 v[15:16], v[15:16], v6
	v_mul_lo_u32 v6, v10, s4
	v_mad_co_u64_u32 v[9:10], null, v9, s4, 0
	s_delay_alu instid0(VALU_DEP_1) | instskip(NEXT) | instid1(VALU_DEP_1)
	v_add3_u32 v10, v10, v18, v6
	v_lshlrev_b64_e32 v[9:10], 2, v[9:10]
	s_wait_alu 0xfffd
	v_dual_cndmask_b32 v14, v16, v14 :: v_dual_cndmask_b32 v13, v15, v13
	s_delay_alu instid0(VALU_DEP_1) | instskip(NEXT) | instid1(VALU_DEP_1)
	v_add_f64_e32 v[13:14], -1.0, v[13:14]
	v_mul_f64_e32 v[13:14], 0.5, v[13:14]
	s_delay_alu instid0(VALU_DEP_1) | instskip(NEXT) | instid1(VALU_DEP_1)
	v_trunc_f64_e32 v[13:14], v[13:14]
	v_ldexp_f64 v[15:16], v[13:14], 0xffffffe0
	s_delay_alu instid0(VALU_DEP_1) | instskip(NEXT) | instid1(VALU_DEP_1)
	v_floor_f64_e32 v[15:16], v[15:16]
	v_fma_f64 v[13:14], 0xc1f00000, v[15:16], v[13:14]
	v_cvt_u32_f64_e32 v15, v[15:16]
	s_delay_alu instid0(VALU_DEP_2) | instskip(NEXT) | instid1(VALU_DEP_1)
	v_cvt_u32_f64_e32 v14, v[13:14]
	v_mad_co_u64_u32 v[16:17], null, v14, v14, v[14:15]
	v_mul_lo_u32 v19, v14, v15
	v_mul_lo_u32 v15, s20, v15
	;; [unrolled: 1-line block ×3, first 2 shown]
	v_mad_co_u64_u32 v[13:14], null, s20, v14, s[20:21]
	s_delay_alu instid0(VALU_DEP_4) | instskip(NEXT) | instid1(VALU_DEP_2)
	v_add3_u32 v17, v19, v17, v19
	v_add3_u32 v14, v20, v14, v15
	s_delay_alu instid0(VALU_DEP_2) | instskip(NEXT) | instid1(VALU_DEP_2)
	v_lshrrev_b64 v[15:16], 1, v[16:17]
	v_lshlrev_b64_e32 v[13:14], 2, v[13:14]
	s_delay_alu instid0(VALU_DEP_2) | instskip(SKIP_1) | instid1(VALU_DEP_3)
	v_sub_co_u32 v11, vcc_lo, v11, v15
	s_wait_alu 0xfffd
	v_sub_co_ci_u32_e64 v12, null, v12, v16, vcc_lo
	v_add_co_u32 v6, vcc_lo, s38, v9
	s_wait_alu 0xfffd
	v_add_co_ci_u32_e64 v15, null, s39, v10, vcc_lo
	s_delay_alu instid0(VALU_DEP_3) | instskip(NEXT) | instid1(VALU_DEP_3)
	v_lshlrev_b64_e32 v[9:10], 2, v[11:12]
	v_add_co_u32 v6, vcc_lo, v6, v13
	s_wait_alu 0xfffd
	s_delay_alu instid0(VALU_DEP_3) | instskip(NEXT) | instid1(VALU_DEP_2)
	v_add_co_ci_u32_e64 v11, null, v15, v14, vcc_lo
	v_add_co_u32 v9, vcc_lo, v6, v9
	s_wait_alu 0xfffd
	s_delay_alu instid0(VALU_DEP_2)
	v_add_co_ci_u32_e64 v10, null, v11, v10, vcc_lo
	global_store_b32 v[9:10], v5, off
	s_branch .LBB0_5
.LBB0_17:
	s_endpgm
	.section	.rodata,"a",@progbits
	.p2align	6, 0x0
	.amdhsa_kernel _ZL18rocblas_trtri_fillILi128EfPfEvP15_rocblas_handle13rocblas_fill_ililT1_llii
		.amdhsa_group_segment_fixed_size 0
		.amdhsa_private_segment_fixed_size 0
		.amdhsa_kernarg_size 328
		.amdhsa_user_sgpr_count 2
		.amdhsa_user_sgpr_dispatch_ptr 0
		.amdhsa_user_sgpr_queue_ptr 0
		.amdhsa_user_sgpr_kernarg_segment_ptr 1
		.amdhsa_user_sgpr_dispatch_id 0
		.amdhsa_user_sgpr_private_segment_size 0
		.amdhsa_wavefront_size32 1
		.amdhsa_uses_dynamic_stack 0
		.amdhsa_enable_private_segment 0
		.amdhsa_system_sgpr_workgroup_id_x 1
		.amdhsa_system_sgpr_workgroup_id_y 0
		.amdhsa_system_sgpr_workgroup_id_z 1
		.amdhsa_system_sgpr_workgroup_info 0
		.amdhsa_system_vgpr_workitem_id 0
		.amdhsa_next_free_vgpr 26
		.amdhsa_next_free_sgpr 47
		.amdhsa_reserve_vcc 1
		.amdhsa_float_round_mode_32 0
		.amdhsa_float_round_mode_16_64 0
		.amdhsa_float_denorm_mode_32 3
		.amdhsa_float_denorm_mode_16_64 3
		.amdhsa_fp16_overflow 0
		.amdhsa_workgroup_processor_mode 1
		.amdhsa_memory_ordered 1
		.amdhsa_forward_progress 1
		.amdhsa_inst_pref_size 19
		.amdhsa_round_robin_scheduling 0
		.amdhsa_exception_fp_ieee_invalid_op 0
		.amdhsa_exception_fp_denorm_src 0
		.amdhsa_exception_fp_ieee_div_zero 0
		.amdhsa_exception_fp_ieee_overflow 0
		.amdhsa_exception_fp_ieee_underflow 0
		.amdhsa_exception_fp_ieee_inexact 0
		.amdhsa_exception_int_div_zero 0
	.end_amdhsa_kernel
	.section	.text._ZL18rocblas_trtri_fillILi128EfPfEvP15_rocblas_handle13rocblas_fill_ililT1_llii,"axG",@progbits,_ZL18rocblas_trtri_fillILi128EfPfEvP15_rocblas_handle13rocblas_fill_ililT1_llii,comdat
.Lfunc_end0:
	.size	_ZL18rocblas_trtri_fillILi128EfPfEvP15_rocblas_handle13rocblas_fill_ililT1_llii, .Lfunc_end0-_ZL18rocblas_trtri_fillILi128EfPfEvP15_rocblas_handle13rocblas_fill_ililT1_llii
                                        ; -- End function
	.set _ZL18rocblas_trtri_fillILi128EfPfEvP15_rocblas_handle13rocblas_fill_ililT1_llii.num_vgpr, 26
	.set _ZL18rocblas_trtri_fillILi128EfPfEvP15_rocblas_handle13rocblas_fill_ililT1_llii.num_agpr, 0
	.set _ZL18rocblas_trtri_fillILi128EfPfEvP15_rocblas_handle13rocblas_fill_ililT1_llii.numbered_sgpr, 47
	.set _ZL18rocblas_trtri_fillILi128EfPfEvP15_rocblas_handle13rocblas_fill_ililT1_llii.num_named_barrier, 0
	.set _ZL18rocblas_trtri_fillILi128EfPfEvP15_rocblas_handle13rocblas_fill_ililT1_llii.private_seg_size, 0
	.set _ZL18rocblas_trtri_fillILi128EfPfEvP15_rocblas_handle13rocblas_fill_ililT1_llii.uses_vcc, 1
	.set _ZL18rocblas_trtri_fillILi128EfPfEvP15_rocblas_handle13rocblas_fill_ililT1_llii.uses_flat_scratch, 0
	.set _ZL18rocblas_trtri_fillILi128EfPfEvP15_rocblas_handle13rocblas_fill_ililT1_llii.has_dyn_sized_stack, 0
	.set _ZL18rocblas_trtri_fillILi128EfPfEvP15_rocblas_handle13rocblas_fill_ililT1_llii.has_recursion, 0
	.set _ZL18rocblas_trtri_fillILi128EfPfEvP15_rocblas_handle13rocblas_fill_ililT1_llii.has_indirect_call, 0
	.section	.AMDGPU.csdata,"",@progbits
; Kernel info:
; codeLenInByte = 2400
; TotalNumSgprs: 49
; NumVgprs: 26
; ScratchSize: 0
; MemoryBound: 0
; FloatMode: 240
; IeeeMode: 1
; LDSByteSize: 0 bytes/workgroup (compile time only)
; SGPRBlocks: 0
; VGPRBlocks: 3
; NumSGPRsForWavesPerEU: 49
; NumVGPRsForWavesPerEU: 26
; Occupancy: 16
; WaveLimiterHint : 0
; COMPUTE_PGM_RSRC2:SCRATCH_EN: 0
; COMPUTE_PGM_RSRC2:USER_SGPR: 2
; COMPUTE_PGM_RSRC2:TRAP_HANDLER: 0
; COMPUTE_PGM_RSRC2:TGID_X_EN: 1
; COMPUTE_PGM_RSRC2:TGID_Y_EN: 0
; COMPUTE_PGM_RSRC2:TGID_Z_EN: 1
; COMPUTE_PGM_RSRC2:TIDIG_COMP_CNT: 0
	.section	.text._ZL26rocblas_trtri_small_kernelILi16EfPKfPfEv13rocblas_fill_17rocblas_diagonal_iT1_lillT2_lilli,"axG",@progbits,_ZL26rocblas_trtri_small_kernelILi16EfPKfPfEv13rocblas_fill_17rocblas_diagonal_iT1_lillT2_lilli,comdat
	.globl	_ZL26rocblas_trtri_small_kernelILi16EfPKfPfEv13rocblas_fill_17rocblas_diagonal_iT1_lillT2_lilli ; -- Begin function _ZL26rocblas_trtri_small_kernelILi16EfPKfPfEv13rocblas_fill_17rocblas_diagonal_iT1_lillT2_lilli
	.p2align	8
	.type	_ZL26rocblas_trtri_small_kernelILi16EfPKfPfEv13rocblas_fill_17rocblas_diagonal_iT1_lillT2_lilli,@function
_ZL26rocblas_trtri_small_kernelILi16EfPKfPfEv13rocblas_fill_17rocblas_diagonal_iT1_lillT2_lilli: ; @_ZL26rocblas_trtri_small_kernelILi16EfPKfPfEv13rocblas_fill_17rocblas_diagonal_iT1_lillT2_lilli
; %bb.0:
	s_load_b32 s23, s[0:1], 0x60
	s_lshr_b32 s2, ttmp7, 16
	s_wait_kmcnt 0x0
	s_cmp_ge_u32 s2, s23
	s_cbranch_scc1 .LBB1_38
; %bb.1:
	s_clause 0x5
	s_load_b32 s28, s[0:1], 0x20
	s_load_b32 s30, s[0:1], 0x48
	s_load_b96 s[20:22], s[0:1], 0x0
	s_load_b256 s[4:11], s[0:1], 0x28
	s_load_b128 s[16:19], s[0:1], 0x10
	s_load_b128 s[12:15], s[0:1], 0x50
	s_mov_b32 s3, 0
	s_mov_b32 s26, ttmp9
	s_mov_b32 s27, s3
	s_mov_b32 s35, s3
	v_lshlrev_b32_e32 v3, 2, v0
	v_add_nc_u32_e32 v8, 1, v0
	s_wait_kmcnt 0x0
	s_ashr_i32 s29, s28, 31
	s_ashr_i32 s31, s30, 31
	s_cmp_gt_i32 s22, 0
	s_mul_u64 s[6:7], s[6:7], s[26:27]
	s_cselect_b32 s24, -1, 0
	s_cmp_lg_u32 s20, 0x7a
	s_mul_u64 s[14:15], s[14:15], s[26:27]
	s_cselect_b32 s20, -1, 0
	s_add_co_i32 s34, s22, -1
	s_cmp_lg_u32 s21, 0x84
	s_mul_u64 s[36:37], s[28:29], s[34:35]
	s_cselect_b32 s21, -1, 0
	s_lshl_b64 s[6:7], s[6:7], 2
	s_lshl_b64 s[18:19], s[18:19], 2
	;; [unrolled: 1-line block ×3, first 2 shown]
	s_add_nc_u64 s[38:39], s[6:7], s[18:19]
	s_lshl_b64 s[14:15], s[14:15], 2
	s_add_nc_u64 s[6:7], s[38:39], s[36:37]
	s_lshl_b64 s[10:11], s[10:11], 2
	s_add_nc_u64 s[6:7], s[16:17], s[6:7]
	s_add_nc_u64 s[16:17], s[16:17], s[38:39]
	v_add_co_u32 v6, s1, s6, v3
	s_delay_alu instid0(VALU_DEP_1)
	v_add_co_ci_u32_e64 v7, null, s7, 0, s1
	v_add_co_u32 v9, s1, s16, v3
	s_wait_alu 0xf1ff
	v_add_co_ci_u32_e64 v10, null, s17, 0, s1
	s_mul_u64 s[16:17], s[30:31], s[34:35]
	s_add_nc_u64 s[10:11], s[14:15], s[10:11]
	s_wait_alu 0xfffe
	s_lshl_b64 s[26:27], s[16:17], 2
	v_mul_lo_u32 v1, v0, s22
	s_add_nc_u64 s[14:15], s[10:11], s[26:27]
	v_sub_nc_u32_e32 v2, s34, v0
	s_add_nc_u64 s[14:15], s[8:9], s[14:15]
	s_add_nc_u64 s[8:9], s[8:9], s[10:11]
	v_add_co_u32 v12, s1, s14, v3
	s_lshl_b32 s25, s22, 2
	v_add_co_ci_u32_e64 v13, null, s15, 0, s1
	v_add_co_u32 v14, s1, s8, v3
	v_cmp_gt_u32_e64 s0, s22, v0
	v_add_lshl_u32 v4, v1, v0, 2
	v_lshlrev_b32_e32 v5, 2, v2
	v_add_nc_u32_e32 v11, s25, v3
	s_wait_alu 0xf1ff
	v_add_co_ci_u32_e64 v15, null, s9, 0, s1
	s_lshl_b64 s[6:7], s[28:29], 2
	s_lshl_b64 s[8:9], s[30:31], 2
	s_lshl_b64 s[4:5], s[4:5], 2
	s_wait_alu 0xfffe
	s_sub_nc_u64 s[18:19], 0, s[6:7]
	s_add_co_i32 s16, s25, 4
	s_lshl_b64 s[10:11], s[12:13], 2
	s_sub_nc_u64 s[12:13], 0, s[8:9]
	s_branch .LBB1_4
.LBB1_2:                                ;   in Loop: Header=BB1_4 Depth=1
	s_wait_alu 0xfffe
	s_or_b32 exec_lo, exec_lo, s17
.LBB1_3:                                ;   in Loop: Header=BB1_4 Depth=1
	s_add_co_i32 s2, s2, 0x10000
	s_delay_alu instid0(SALU_CYCLE_1)
	s_cmp_lt_u32 s2, s23
	s_cbranch_scc0 .LBB1_38
.LBB1_4:                                ; =>This Loop Header: Depth=1
                                        ;     Child Loop BB1_8 Depth 2
                                        ;     Child Loop BB1_12 Depth 2
	;; [unrolled: 1-line block ×3, first 2 shown]
                                        ;       Child Loop BB1_26 Depth 3
                                        ;     Child Loop BB1_33 Depth 2
                                        ;     Child Loop BB1_37 Depth 2
	s_and_not1_b32 vcc_lo, exec_lo, s24
	s_wait_alu 0xfffe
	s_cbranch_vccnz .LBB1_3
; %bb.5:                                ;   in Loop: Header=BB1_4 Depth=1
	s_and_saveexec_b32 s17, s0
	s_cbranch_execz .LBB1_13
; %bb.6:                                ;   in Loop: Header=BB1_4 Depth=1
	s_mul_u64 s[14:15], s[4:5], s[2:3]
	s_and_not1_b32 vcc_lo, exec_lo, s20
	s_mov_b32 s1, -1
	s_wait_alu 0xfffe
	s_cbranch_vccnz .LBB1_10
; %bb.7:                                ;   in Loop: Header=BB1_4 Depth=1
	v_add_co_u32 v1, vcc_lo, v6, s14
	s_wait_alu 0xfffd
	v_add_co_ci_u32_e64 v2, null, s15, v7, vcc_lo
	v_mov_b32_e32 v16, v5
	s_mov_b32 s26, 0
	s_mov_b32 s27, s22
.LBB1_8:                                ;   Parent Loop BB1_4 Depth=1
                                        ; =>  This Inner Loop Header: Depth=2
	global_load_b32 v17, v[1:2], off
	s_wait_alu 0xfffe
	s_add_co_i32 s27, s27, -1
	v_add_co_u32 v1, vcc_lo, v1, s18
	s_wait_alu 0xfffe
	v_cmp_le_u32_e64 s1, s27, v0
	s_wait_alu 0xfffd
	v_add_co_ci_u32_e64 v2, null, s19, v2, vcc_lo
	s_or_b32 s26, s1, s26
	s_wait_loadcnt 0x0
	ds_store_b32 v16, v17
	v_add_nc_u32_e32 v16, s25, v16
	s_wait_alu 0xfffe
	s_and_not1_b32 exec_lo, exec_lo, s26
	s_cbranch_execnz .LBB1_8
; %bb.9:                                ;   in Loop: Header=BB1_4 Depth=1
	s_or_b32 exec_lo, exec_lo, s26
	s_mov_b32 s1, 0
.LBB1_10:                               ;   in Loop: Header=BB1_4 Depth=1
	s_wait_alu 0xfffe
	s_and_b32 vcc_lo, exec_lo, s1
	s_wait_alu 0xfffe
	s_cbranch_vccz .LBB1_13
; %bb.11:                               ;   in Loop: Header=BB1_4 Depth=1
	v_add_co_u32 v1, vcc_lo, v9, s14
	s_wait_alu 0xfffd
	v_add_co_ci_u32_e64 v2, null, s15, v10, vcc_lo
	v_dual_mov_b32 v16, v3 :: v_dual_mov_b32 v17, v8
	s_mov_b32 s14, 0
.LBB1_12:                               ;   Parent Loop BB1_4 Depth=1
                                        ; =>  This Inner Loop Header: Depth=2
	global_load_b32 v18, v[1:2], off
	v_add_nc_u32_e32 v17, -1, v17
	v_add_co_u32 v1, vcc_lo, v1, s6
	s_wait_alu 0xfffd
	v_add_co_ci_u32_e64 v2, null, s7, v2, vcc_lo
	s_delay_alu instid0(VALU_DEP_3)
	v_cmp_eq_u32_e64 s1, 0, v17
	s_wait_alu 0xfffe
	s_or_b32 s14, s1, s14
	s_wait_loadcnt 0x0
	ds_store_b32 v16, v18
	v_add_nc_u32_e32 v16, s25, v16
	s_wait_alu 0xfffe
	s_and_not1_b32 exec_lo, exec_lo, s14
	s_cbranch_execnz .LBB1_12
.LBB1_13:                               ;   in Loop: Header=BB1_4 Depth=1
	s_wait_alu 0xfffe
	s_or_b32 exec_lo, exec_lo, s17
	s_wait_dscnt 0x0
	; wave barrier
	global_inv scope:SCOPE_SE
	s_and_saveexec_b32 s1, s0
	s_cbranch_execz .LBB1_19
; %bb.14:                               ;   in Loop: Header=BB1_4 Depth=1
	v_mov_b32_e32 v2, 1.0
	s_and_not1_b32 vcc_lo, exec_lo, s21
	s_wait_alu 0xfffe
	s_cbranch_vccnz .LBB1_18
; %bb.15:                               ;   in Loop: Header=BB1_4 Depth=1
	ds_load_b32 v1, v4
	v_mov_b32_e32 v2, 1.0
	s_mov_b32 s14, exec_lo
	s_wait_dscnt 0x0
	v_cmpx_neq_f32_e32 0, v1
	s_cbranch_execz .LBB1_17
; %bb.16:                               ;   in Loop: Header=BB1_4 Depth=1
	v_div_scale_f32 v2, null, v1, v1, 1.0
	s_delay_alu instid0(VALU_DEP_1) | instskip(NEXT) | instid1(TRANS32_DEP_1)
	v_rcp_f32_e32 v16, v2
	v_fma_f32 v17, -v2, v16, 1.0
	s_delay_alu instid0(VALU_DEP_1) | instskip(SKIP_1) | instid1(VALU_DEP_1)
	v_fmac_f32_e32 v16, v17, v16
	v_div_scale_f32 v17, vcc_lo, 1.0, v1, 1.0
	v_mul_f32_e32 v18, v17, v16
	s_delay_alu instid0(VALU_DEP_1) | instskip(NEXT) | instid1(VALU_DEP_1)
	v_fma_f32 v19, -v2, v18, v17
	v_fmac_f32_e32 v18, v19, v16
	s_delay_alu instid0(VALU_DEP_1) | instskip(SKIP_1) | instid1(VALU_DEP_1)
	v_fma_f32 v2, -v2, v18, v17
	s_wait_alu 0xfffd
	v_div_fmas_f32 v2, v2, v16, v18
	s_delay_alu instid0(VALU_DEP_1)
	v_div_fixup_f32 v2, v2, v1, 1.0
.LBB1_17:                               ;   in Loop: Header=BB1_4 Depth=1
	s_wait_alu 0xfffe
	s_or_b32 exec_lo, exec_lo, s14
.LBB1_18:                               ;   in Loop: Header=BB1_4 Depth=1
	ds_store_b32 v4, v2
.LBB1_19:                               ;   in Loop: Header=BB1_4 Depth=1
	s_wait_alu 0xfffe
	s_or_b32 exec_lo, exec_lo, s1
	v_mov_b32_e32 v1, v11
	s_mov_b32 s1, 0
	s_mov_b32 s14, 4
	; wave barrier
	s_wait_loadcnt_dscnt 0x0
	global_inv scope:SCOPE_SE
	s_branch .LBB1_21
.LBB1_20:                               ;   in Loop: Header=BB1_21 Depth=2
	v_add_nc_u32_e32 v1, s25, v1
	s_add_co_i32 s14, s14, s16
	s_cmp_eq_u32 s1, s22
	s_wait_loadcnt 0x0
	; wave barrier
	global_inv scope:SCOPE_SE
	s_cbranch_scc1 .LBB1_30
.LBB1_21:                               ;   Parent Loop BB1_4 Depth=1
                                        ; =>  This Loop Header: Depth=2
                                        ;       Child Loop BB1_26 Depth 3
	v_mov_b32_e32 v2, 0
	s_wait_alu 0xfffe
	s_mul_i32 s15, s1, s22
	s_mov_b32 s17, exec_lo
	v_cmpx_lt_u32_e64 s1, v0
	s_cbranch_execz .LBB1_23
; %bb.22:                               ;   in Loop: Header=BB1_21 Depth=2
	s_lshl_b32 s26, s1, 2
	s_wait_alu 0xfffe
	s_lshl_b32 s27, s15, 2
	s_wait_alu 0xfffe
	s_add_co_i32 s26, s26, s27
	v_add_nc_u32_e32 v2, s27, v3
	s_wait_alu 0xfffe
	v_mov_b32_e32 v16, s26
	ds_load_b32 v2, v2
	ds_load_b32 v16, v16
	s_wait_dscnt 0x0
	v_fma_f32 v2, v2, v16, 0
.LBB1_23:                               ;   in Loop: Header=BB1_21 Depth=2
	s_wait_alu 0xfffe
	s_or_b32 exec_lo, exec_lo, s17
	s_add_co_i32 s1, s1, 1
	s_wait_loadcnt 0x0
	s_wait_alu 0xfffe
	s_cmp_ge_i32 s1, s22
	; wave barrier
	global_inv scope:SCOPE_SE
	s_cbranch_scc1 .LBB1_20
; %bb.24:                               ;   in Loop: Header=BB1_21 Depth=2
	v_lshl_add_u32 v16, s15, 2, v3
	v_mov_b32_e32 v17, v1
	s_mov_b32 s15, s14
	s_mov_b32 s17, s1
	s_branch .LBB1_26
.LBB1_25:                               ;   in Loop: Header=BB1_26 Depth=3
	s_wait_alu 0xfffe
	s_or_b32 exec_lo, exec_lo, s26
	v_add_nc_u32_e32 v17, s25, v17
	s_add_co_i32 s17, s17, 1
	s_add_co_i32 s15, s15, 4
	s_wait_alu 0xfffe
	s_cmp_eq_u32 s22, s17
	s_wait_loadcnt 0x0
	; wave barrier
	global_inv scope:SCOPE_SE
	s_cbranch_scc1 .LBB1_20
.LBB1_26:                               ;   Parent Loop BB1_4 Depth=1
                                        ;     Parent Loop BB1_21 Depth=2
                                        ; =>    This Inner Loop Header: Depth=3
	s_mov_b32 s26, exec_lo
	s_wait_alu 0xfffe
	v_cmpx_eq_u32_e64 s17, v0
	s_cbranch_execz .LBB1_28
; %bb.27:                               ;   in Loop: Header=BB1_26 Depth=3
	ds_load_b32 v18, v4
	s_wait_dscnt 0x0
	v_mul_f32_e64 v18, -v2, v18
	ds_store_b32 v16, v18
.LBB1_28:                               ;   in Loop: Header=BB1_26 Depth=3
	s_or_b32 exec_lo, exec_lo, s26
	s_delay_alu instid0(SALU_CYCLE_1)
	s_mov_b32 s26, exec_lo
	; wave barrier
	s_wait_loadcnt_dscnt 0x0
	global_inv scope:SCOPE_SE
	v_cmpx_lt_u32_e64 s17, v0
	s_cbranch_execz .LBB1_25
; %bb.29:                               ;   in Loop: Header=BB1_26 Depth=3
	v_mov_b32_e32 v18, s15
	ds_load_b32 v19, v17
	ds_load_b32 v18, v18
	s_wait_dscnt 0x0
	v_fmac_f32_e32 v2, v19, v18
	s_branch .LBB1_25
.LBB1_30:                               ;   in Loop: Header=BB1_4 Depth=1
	s_and_saveexec_b32 s17, s0
	s_cbranch_execz .LBB1_2
; %bb.31:                               ;   in Loop: Header=BB1_4 Depth=1
	s_mul_u64 s[14:15], s[10:11], s[2:3]
	s_and_not1_b32 vcc_lo, exec_lo, s20
	s_mov_b32 s1, -1
	s_wait_alu 0xfffe
	s_cbranch_vccnz .LBB1_35
; %bb.32:                               ;   in Loop: Header=BB1_4 Depth=1
	v_add_co_u32 v1, vcc_lo, v12, s14
	s_wait_alu 0xfffd
	v_add_co_ci_u32_e64 v2, null, s15, v13, vcc_lo
	v_mov_b32_e32 v16, v5
	s_mov_b32 s26, 0
	s_mov_b32 s27, s22
.LBB1_33:                               ;   Parent Loop BB1_4 Depth=1
                                        ; =>  This Inner Loop Header: Depth=2
	ds_load_b32 v17, v16
	s_wait_alu 0xfffe
	s_add_co_i32 s27, s27, -1
	v_add_nc_u32_e32 v16, s25, v16
	s_wait_alu 0xfffe
	v_cmp_le_u32_e32 vcc_lo, s27, v0
	s_or_b32 s26, vcc_lo, s26
	s_wait_dscnt 0x0
	global_store_b32 v[1:2], v17, off
	v_add_co_u32 v1, s1, v1, s12
	s_wait_alu 0xf1ff
	v_add_co_ci_u32_e64 v2, null, s13, v2, s1
	s_wait_alu 0xfffe
	s_and_not1_b32 exec_lo, exec_lo, s26
	s_cbranch_execnz .LBB1_33
; %bb.34:                               ;   in Loop: Header=BB1_4 Depth=1
	s_or_b32 exec_lo, exec_lo, s26
	s_mov_b32 s1, 0
.LBB1_35:                               ;   in Loop: Header=BB1_4 Depth=1
	s_wait_alu 0xfffe
	s_and_b32 vcc_lo, exec_lo, s1
	s_wait_alu 0xfffe
	s_cbranch_vccz .LBB1_2
; %bb.36:                               ;   in Loop: Header=BB1_4 Depth=1
	v_add_co_u32 v1, vcc_lo, v14, s14
	s_wait_alu 0xfffd
	v_add_co_ci_u32_e64 v2, null, s15, v15, vcc_lo
	v_dual_mov_b32 v16, v3 :: v_dual_mov_b32 v17, v8
	s_mov_b32 s14, 0
.LBB1_37:                               ;   Parent Loop BB1_4 Depth=1
                                        ; =>  This Inner Loop Header: Depth=2
	ds_load_b32 v18, v16
	v_add_nc_u32_e32 v17, -1, v17
	v_add_nc_u32_e32 v16, s25, v16
	s_delay_alu instid0(VALU_DEP_2)
	v_cmp_eq_u32_e32 vcc_lo, 0, v17
	s_wait_alu 0xfffe
	s_or_b32 s14, vcc_lo, s14
	s_wait_dscnt 0x0
	global_store_b32 v[1:2], v18, off
	v_add_co_u32 v1, s1, v1, s8
	s_wait_alu 0xf1ff
	v_add_co_ci_u32_e64 v2, null, s9, v2, s1
	s_wait_alu 0xfffe
	s_and_not1_b32 exec_lo, exec_lo, s14
	s_cbranch_execnz .LBB1_37
	s_branch .LBB1_2
.LBB1_38:
	s_endpgm
	.section	.rodata,"a",@progbits
	.p2align	6, 0x0
	.amdhsa_kernel _ZL26rocblas_trtri_small_kernelILi16EfPKfPfEv13rocblas_fill_17rocblas_diagonal_iT1_lillT2_lilli
		.amdhsa_group_segment_fixed_size 1024
		.amdhsa_private_segment_fixed_size 0
		.amdhsa_kernarg_size 100
		.amdhsa_user_sgpr_count 2
		.amdhsa_user_sgpr_dispatch_ptr 0
		.amdhsa_user_sgpr_queue_ptr 0
		.amdhsa_user_sgpr_kernarg_segment_ptr 1
		.amdhsa_user_sgpr_dispatch_id 0
		.amdhsa_user_sgpr_private_segment_size 0
		.amdhsa_wavefront_size32 1
		.amdhsa_uses_dynamic_stack 0
		.amdhsa_enable_private_segment 0
		.amdhsa_system_sgpr_workgroup_id_x 1
		.amdhsa_system_sgpr_workgroup_id_y 0
		.amdhsa_system_sgpr_workgroup_id_z 1
		.amdhsa_system_sgpr_workgroup_info 0
		.amdhsa_system_vgpr_workitem_id 0
		.amdhsa_next_free_vgpr 20
		.amdhsa_next_free_sgpr 40
		.amdhsa_reserve_vcc 1
		.amdhsa_float_round_mode_32 0
		.amdhsa_float_round_mode_16_64 0
		.amdhsa_float_denorm_mode_32 3
		.amdhsa_float_denorm_mode_16_64 3
		.amdhsa_fp16_overflow 0
		.amdhsa_workgroup_processor_mode 1
		.amdhsa_memory_ordered 1
		.amdhsa_forward_progress 1
		.amdhsa_inst_pref_size 13
		.amdhsa_round_robin_scheduling 0
		.amdhsa_exception_fp_ieee_invalid_op 0
		.amdhsa_exception_fp_denorm_src 0
		.amdhsa_exception_fp_ieee_div_zero 0
		.amdhsa_exception_fp_ieee_overflow 0
		.amdhsa_exception_fp_ieee_underflow 0
		.amdhsa_exception_fp_ieee_inexact 0
		.amdhsa_exception_int_div_zero 0
	.end_amdhsa_kernel
	.section	.text._ZL26rocblas_trtri_small_kernelILi16EfPKfPfEv13rocblas_fill_17rocblas_diagonal_iT1_lillT2_lilli,"axG",@progbits,_ZL26rocblas_trtri_small_kernelILi16EfPKfPfEv13rocblas_fill_17rocblas_diagonal_iT1_lillT2_lilli,comdat
.Lfunc_end1:
	.size	_ZL26rocblas_trtri_small_kernelILi16EfPKfPfEv13rocblas_fill_17rocblas_diagonal_iT1_lillT2_lilli, .Lfunc_end1-_ZL26rocblas_trtri_small_kernelILi16EfPKfPfEv13rocblas_fill_17rocblas_diagonal_iT1_lillT2_lilli
                                        ; -- End function
	.set _ZL26rocblas_trtri_small_kernelILi16EfPKfPfEv13rocblas_fill_17rocblas_diagonal_iT1_lillT2_lilli.num_vgpr, 20
	.set _ZL26rocblas_trtri_small_kernelILi16EfPKfPfEv13rocblas_fill_17rocblas_diagonal_iT1_lillT2_lilli.num_agpr, 0
	.set _ZL26rocblas_trtri_small_kernelILi16EfPKfPfEv13rocblas_fill_17rocblas_diagonal_iT1_lillT2_lilli.numbered_sgpr, 40
	.set _ZL26rocblas_trtri_small_kernelILi16EfPKfPfEv13rocblas_fill_17rocblas_diagonal_iT1_lillT2_lilli.num_named_barrier, 0
	.set _ZL26rocblas_trtri_small_kernelILi16EfPKfPfEv13rocblas_fill_17rocblas_diagonal_iT1_lillT2_lilli.private_seg_size, 0
	.set _ZL26rocblas_trtri_small_kernelILi16EfPKfPfEv13rocblas_fill_17rocblas_diagonal_iT1_lillT2_lilli.uses_vcc, 1
	.set _ZL26rocblas_trtri_small_kernelILi16EfPKfPfEv13rocblas_fill_17rocblas_diagonal_iT1_lillT2_lilli.uses_flat_scratch, 0
	.set _ZL26rocblas_trtri_small_kernelILi16EfPKfPfEv13rocblas_fill_17rocblas_diagonal_iT1_lillT2_lilli.has_dyn_sized_stack, 0
	.set _ZL26rocblas_trtri_small_kernelILi16EfPKfPfEv13rocblas_fill_17rocblas_diagonal_iT1_lillT2_lilli.has_recursion, 0
	.set _ZL26rocblas_trtri_small_kernelILi16EfPKfPfEv13rocblas_fill_17rocblas_diagonal_iT1_lillT2_lilli.has_indirect_call, 0
	.section	.AMDGPU.csdata,"",@progbits
; Kernel info:
; codeLenInByte = 1564
; TotalNumSgprs: 42
; NumVgprs: 20
; ScratchSize: 0
; MemoryBound: 0
; FloatMode: 240
; IeeeMode: 1
; LDSByteSize: 1024 bytes/workgroup (compile time only)
; SGPRBlocks: 0
; VGPRBlocks: 2
; NumSGPRsForWavesPerEU: 42
; NumVGPRsForWavesPerEU: 20
; Occupancy: 16
; WaveLimiterHint : 0
; COMPUTE_PGM_RSRC2:SCRATCH_EN: 0
; COMPUTE_PGM_RSRC2:USER_SGPR: 2
; COMPUTE_PGM_RSRC2:TRAP_HANDLER: 0
; COMPUTE_PGM_RSRC2:TGID_X_EN: 1
; COMPUTE_PGM_RSRC2:TGID_Y_EN: 0
; COMPUTE_PGM_RSRC2:TGID_Z_EN: 1
; COMPUTE_PGM_RSRC2:TIDIG_COMP_CNT: 0
	.section	.text._ZL29rocblas_trtri_diagonal_kernelILi16EfPKfPfEv13rocblas_fill_17rocblas_diagonal_iT1_lillT2_lilli,"axG",@progbits,_ZL29rocblas_trtri_diagonal_kernelILi16EfPKfPfEv13rocblas_fill_17rocblas_diagonal_iT1_lillT2_lilli,comdat
	.globl	_ZL29rocblas_trtri_diagonal_kernelILi16EfPKfPfEv13rocblas_fill_17rocblas_diagonal_iT1_lillT2_lilli ; -- Begin function _ZL29rocblas_trtri_diagonal_kernelILi16EfPKfPfEv13rocblas_fill_17rocblas_diagonal_iT1_lillT2_lilli
	.p2align	8
	.type	_ZL29rocblas_trtri_diagonal_kernelILi16EfPKfPfEv13rocblas_fill_17rocblas_diagonal_iT1_lillT2_lilli,@function
_ZL29rocblas_trtri_diagonal_kernelILi16EfPKfPfEv13rocblas_fill_17rocblas_diagonal_iT1_lillT2_lilli: ; @_ZL29rocblas_trtri_diagonal_kernelILi16EfPKfPfEv13rocblas_fill_17rocblas_diagonal_iT1_lillT2_lilli
; %bb.0:
	s_load_b32 s33, s[0:1], 0x60
	s_lshr_b32 s24, ttmp7, 16
	s_wait_kmcnt 0x0
	s_cmp_ge_u32 s24, s33
	s_cbranch_scc1 .LBB2_81
; %bb.1:
	s_clause 0x5
	s_load_b96 s[4:6], s[0:1], 0x0
	s_load_b128 s[20:23], s[0:1], 0x10
	s_load_b32 s34, s[0:1], 0x20
	s_load_b32 s30, s[0:1], 0x48
	s_load_b256 s[8:15], s[0:1], 0x28
	s_load_b128 s[16:19], s[0:1], 0x50
	s_mov_b32 s25, 0
	v_dual_mov_b32 v2, 0 :: v_dual_lshlrev_b32 v5, 2, v0
	s_mov_b32 s1, s25
	s_mov_b32 s3, s25
	;; [unrolled: 1-line block ×5, first 2 shown]
	s_wait_kmcnt 0x0
	s_ashr_i32 s35, s34, 31
	s_ashr_i32 s2, s6, 31
	;; [unrolled: 1-line block ×3, first 2 shown]
	s_lshr_b32 s2, s2, 27
	s_lshl_b64 s[36:37], s[14:15], 2
	s_add_co_i32 s2, s6, s2
	s_lshl_b64 s[14:15], s[34:35], 5
	s_ashr_i32 s7, s2, 5
	s_add_nc_u64 s[44:45], s[12:13], s[36:37]
	s_cvt_f32_u32 s2, s7
	s_add_nc_u64 s[14:15], s[14:15], 32
	s_delay_alu instid0(SALU_CYCLE_2) | instskip(NEXT) | instid1(TRANS32_DEP_1)
	v_rcp_iflag_f32_e32 v1, s2
	v_readfirstlane_b32 s2, v1
	v_cvt_f32_ubyte0_e32 v1, v0
	s_mul_f32 s0, s2, 0x4f7ffffe
	s_sub_co_i32 s2, 0, s7
	s_delay_alu instid0(SALU_CYCLE_2) | instskip(SKIP_1) | instid1(SALU_CYCLE_2)
	s_cvt_u32_f32 s0, s0
	s_wait_alu 0xfffe
	s_mul_i32 s2, s2, s0
	s_wait_alu 0xfffe
	s_mul_hi_u32 s2, s0, s2
	s_wait_alu 0xfffe
	s_add_co_i32 s0, s0, s2
	s_delay_alu instid0(SALU_CYCLE_1) | instskip(NEXT) | instid1(SALU_CYCLE_1)
	s_mul_hi_u32 s0, ttmp9, s0
	s_mul_i32 s2, s0, s7
	s_add_co_i32 s26, s0, 1
	s_wait_alu 0xfffe
	s_sub_co_i32 s2, ttmp9, s2
	s_wait_alu 0xfffe
	s_sub_co_i32 s28, s2, s7
	s_cmp_ge_u32 s2, s7
	s_cselect_b32 s0, s26, s0
	s_cselect_b32 s2, s28, s2
	s_add_co_i32 s26, s0, 1
	s_wait_alu 0xfffe
	s_cmp_ge_u32 s2, s7
	s_cselect_b32 s2, s26, s0
	s_lshl_b64 s[38:39], s[30:31], 5
	s_wait_alu 0xfffe
	s_mul_i32 s0, s2, s7
	s_add_nc_u64 s[40:41], s[38:39], 32
	s_sub_co_i32 s0, ttmp9, s0
	s_mul_u64 s[18:19], s[18:19], s[2:3]
	s_mul_u64 s[48:49], s[10:11], s[2:3]
	;; [unrolled: 1-line block ×3, first 2 shown]
	s_lshl_b32 s7, s0, 4
	s_wait_alu 0xfffe
	s_lshl_b64 s[40:41], s[2:3], 2
	s_sub_co_i32 s2, s6, s7
	s_lshl_b64 s[38:39], s[18:19], 2
	s_wait_alu 0xfffe
	s_min_u32 s26, s2, 16
	s_cmp_lg_u32 s6, s7
	v_cvt_f32_ubyte0_e32 v7, s26
	s_mul_u64 s[18:19], s[14:15], s[0:1]
	s_add_nc_u64 s[0:1], s[44:45], s[40:41]
	s_cselect_b32 s44, -1, 0
	s_lshl_b32 s52, s26, 1
	v_rcp_iflag_f32_e32 v8, v7
	v_mov_b32_e32 v3, s26
	v_cmp_gt_u32_e64 s2, s52, v0
	v_cmp_gt_u32_e32 vcc_lo, s26, v0
	s_mul_u64 s[6:7], s[26:27], s[34:35]
	s_mul_u64 s[14:15], s[26:27], s[30:31]
	s_cmp_lg_u32 s4, 0x7a
	v_cndmask_b32_e64 v4, 0, 0xc00, s2
	s_cselect_b32 s45, -1, 0
	s_cmp_lg_u32 s5, 0x84
	v_mul_f32_e32 v8, v1, v8
	v_cndmask_b32_e64 v9, s52, v3, s2
	s_add_nc_u64 s[4:5], s[6:7], s[26:27]
	s_add_nc_u64 s[6:7], s[14:15], s[26:27]
	s_cselect_b32 s46, -1, 0
	v_trunc_f32_e32 v8, v8
	v_cndmask_b32_e64 v16, v9, 0, vcc_lo
	s_add_co_i32 s42, s26, -1
	v_cndmask_b32_e64 v6, v4, 0x800, vcc_lo
	v_cndmask_b32_e64 v4, s5, 0, vcc_lo
	v_fma_f32 v9, -v8, v7, v1
	v_cndmask_b32_e64 v3, s4, 0, vcc_lo
	v_cndmask_b32_e64 v29, s7, 0, vcc_lo
	;; [unrolled: 1-line block ×3, first 2 shown]
	v_cvt_u32_f32_e32 v8, v8
	v_cmp_ge_f32_e64 vcc_lo, |v9|, v7
	s_lshl_b32 s28, s26, 2
	s_lshl_b64 s[50:51], s[48:49], 2
	s_lshl_b64 s[18:19], s[18:19], 2
	;; [unrolled: 1-line block ×4, first 2 shown]
	s_add_nc_u64 s[4:5], s[50:51], s[18:19]
	s_wait_alu 0xfffe
	s_add_nc_u64 s[6:7], s[28:29], s[6:7]
	s_wait_alu 0xfffd
	v_add_co_ci_u32_e64 v11, null, 0, v8, vcc_lo
	s_add_nc_u64 s[50:51], s[4:5], s[22:23]
	s_wait_alu 0xfffe
	s_mul_u64 s[4:5], s[6:7], s[34:35]
	v_sub_nc_u32_e32 v1, v0, v16
	s_wait_alu 0xfffe
	s_add_nc_u64 s[4:5], s[50:51], s[4:5]
	v_lshlrev_b32_e32 v32, 2, v16
	s_wait_alu 0xfffe
	v_add_co_u32 v8, s4, s4, v5
	v_mul_lo_u16 v12, v11, s26
	s_wait_alu 0xf1ff
	v_add_co_ci_u32_e64 v9, null, s5, 0, s4
	v_add_nc_u32_e32 v14, s26, v1
	v_sub_co_u32 v15, vcc_lo, v8, v32
	v_sub_nc_u16 v12, v0, v12
	s_add_co_i32 s47, s26, 1
	s_lshl_b64 s[18:19], s[34:35], 2
	s_mul_u64 s[34:35], s[34:35], s[42:43]
	v_lshlrev_b64_e32 v[3:4], 2, v[3:4]
	v_mul_i32_i24_e32 v13, s47, v1
	s_wait_alu 0xfffd
	v_subrev_co_ci_u32_e64 v17, null, 0, v9, vcc_lo
	s_lshl_b64 s[34:35], s[34:35], 2
	v_and_b32_e32 v8, 0xffff, v12
	v_add_co_u32 v12, vcc_lo, s20, v15
	v_ashrrev_i32_e32 v15, 31, v14
	s_add_nc_u64 s[34:35], s[50:51], s[34:35]
	v_lshl_add_u32 v9, v13, 2, v6
	s_wait_alu 0xfffd
	v_add_co_ci_u32_e64 v13, null, s21, v17, vcc_lo
	v_add_co_u32 v17, vcc_lo, s34, v3
	v_lshlrev_b64_e32 v[14:15], 2, v[14:15]
	s_wait_alu 0xfffd
	v_add_co_ci_u32_e64 v18, null, s35, v4, vcc_lo
	s_delay_alu instid0(VALU_DEP_3)
	v_add_co_u32 v17, vcc_lo, v17, v5
	s_add_nc_u64 s[34:35], s[20:21], s[50:51]
	s_wait_alu 0xfffd
	v_add_co_ci_u32_e64 v18, null, 0, v18, vcc_lo
	s_wait_alu 0xfffe
	v_add_co_u32 v14, vcc_lo, s34, v14
	s_wait_alu 0xfffd
	v_add_co_ci_u32_e64 v15, null, s35, v15, vcc_lo
	v_sub_co_u32 v17, vcc_lo, v17, v32
	s_wait_alu 0xfffd
	v_subrev_co_ci_u32_e64 v18, null, 0, v18, vcc_lo
	v_add_lshl_u32 v19, v16, s26, 2
	s_delay_alu instid0(VALU_DEP_3) | instskip(SKIP_1) | instid1(VALU_DEP_3)
	v_add_co_u32 v16, vcc_lo, s20, v17
	s_wait_alu 0xfffd
	v_add_co_ci_u32_e64 v17, null, s21, v18, vcc_lo
	v_add_co_u32 v3, vcc_lo, s50, v3
	s_wait_alu 0xfffd
	v_add_co_ci_u32_e64 v4, null, s51, v4, vcc_lo
	s_add_nc_u64 s[10:11], s[0:1], s[38:39]
	v_add_co_u32 v3, vcc_lo, v3, v5
	s_mul_i32 s0, s26, 3
	s_mul_i32 s1, s26, s26
	v_cmp_gt_u32_e64 s0, s0, v0
	v_cmp_gt_u32_e64 s1, s1, v0
	v_cmp_le_u32_e64 s3, s52, v0
	v_and_b32_e32 v0, 0xffff, v11
	v_cmp_gt_u16_e64 s6, 16, v11
	v_lshlrev_b32_e32 v11, 2, v8
	v_sub_nc_u32_e32 v18, v19, v5
	s_wait_alu 0xfffd
	v_add_co_ci_u32_e64 v4, null, 0, v4, vcc_lo
	v_add_nc_u32_e32 v19, s28, v5
	v_sub_co_u32 v3, vcc_lo, v3, v32
	s_wait_alu 0xfffd
	s_delay_alu instid0(VALU_DEP_3) | instskip(NEXT) | instid1(VALU_DEP_3)
	v_subrev_co_ci_u32_e64 v4, null, 0, v4, vcc_lo
	v_sub_nc_u32_e32 v22, v19, v32
	s_delay_alu instid0(VALU_DEP_3)
	v_add_co_u32 v19, vcc_lo, s20, v3
	v_sub_nc_u32_e32 v3, s28, v11
	s_wait_alu 0xfffd
	v_add_co_ci_u32_e64 v20, null, s21, v4, vcc_lo
	s_add_nc_u64 s[20:21], s[26:27], -1
	s_add_nc_u64 s[34:35], s[38:39], s[40:41]
	v_mul_lo_u32 v3, s26, v3
	s_wait_alu 0xfffe
	s_mul_u64 s[20:21], s[20:21], s[30:31]
	s_mul_i32 s49, s26, s42
	s_wait_alu 0xfffe
	s_lshl_b64 s[20:21], s[20:21], 2
	v_lshl_add_u32 v10, s49, 2, v5
	s_wait_alu 0xfffe
	s_add_nc_u64 s[20:21], s[34:35], s[20:21]
	v_mul_u32_u24_e32 v30, s26, v0
	s_wait_alu 0xfffe
	s_add_nc_u64 s[20:21], s[36:37], s[20:21]
	v_sub_nc_u32_e32 v31, v3, v11
	v_lshlrev_b64_e32 v[3:4], 2, v[28:29]
	v_sub_nc_u32_e32 v10, v10, v32
	v_mad_co_i64_i32 v[39:40], null, v0, s30, 0
	s_delay_alu instid0(VALU_DEP_4)
	v_add_nc_u32_e32 v29, 0x7fc, v31
	v_lshlrev_b32_e32 v41, 6, v0
	s_wait_alu 0xfffe
	v_add_co_u32 v31, vcc_lo, s20, v3
	s_wait_alu 0xfffd
	v_add_co_ci_u32_e64 v33, null, s21, v4, vcc_lo
	s_add_nc_u64 s[20:21], s[36:37], s[34:35]
	v_add_co_u32 v5, vcc_lo, v31, v5
	s_wait_alu 0xfffd
	v_add_co_ci_u32_e64 v33, null, 0, v33, vcc_lo
	v_add_nc_u32_e32 v38, s26, v8
	s_delay_alu instid0(VALU_DEP_3) | instskip(SKIP_1) | instid1(VALU_DEP_3)
	v_sub_co_u32 v5, vcc_lo, v5, v32
	s_wait_alu 0xfffd
	v_subrev_co_ci_u32_e64 v33, null, 0, v33, vcc_lo
	s_wait_alu 0xfffe
	v_add_co_u32 v34, vcc_lo, s20, v3
	v_lshlrev_b64_e32 v[2:3], 2, v[1:2]
	s_wait_alu 0xfffd
	v_add_co_ci_u32_e64 v4, null, s21, v4, vcc_lo
	v_add_co_u32 v32, vcc_lo, s12, v5
	s_wait_alu 0xfffd
	v_add_co_ci_u32_e64 v33, null, s13, v33, vcc_lo
	v_add_co_u32 v2, vcc_lo, v34, v2
	s_wait_alu 0xfffd
	v_add_co_ci_u32_e64 v3, null, v4, v3, vcc_lo
	v_add_nc_u32_e32 v42, 0x400, v11
	v_lshlrev_b32_e32 v30, 2, v30
	v_add_co_u32 v35, vcc_lo, s12, v2
	s_movk_i32 s7, 0x44
	s_wait_alu 0xfffd
	v_add_co_ci_u32_e64 v36, null, s13, v3, vcc_lo
	v_lshlrev_b64_e32 v[2:3], 2, v[39:40]
	v_lshl_add_u32 v7, v1, 2, v6
	v_cmp_gt_i32_e64 s4, s26, v1
	v_cmp_lt_i32_e64 s5, -1, v1
	v_add_nc_u32_e32 v10, v6, v10
	v_add3_u32 v18, v18, v6, -4
	v_or_b32_e32 v21, 4, v6
	v_add_nc_u32_e32 v22, v6, v22
	v_sub_nc_u32_e32 v23, 0xffc, v41
	v_add_nc_u32_e32 v24, -1, v0
	s_wait_alu 0xfffe
	v_mad_u32_u24 v25, v0, s7, 0x800
	v_add_nc_u32_e32 v26, v41, v11
	v_add_nc_u32_e32 v27, -1, v8
	v_add3_u32 v28, v30, v11, 0x400
	v_add_nc_u32_e32 v30, 0x400, v30
	v_add_nc_u32_e32 v31, 0xc00, v11
	;; [unrolled: 1-line block ×3, first 2 shown]
	v_lshlrev_b32_e32 v37, 2, v8
	v_lshlrev_b32_e32 v38, 2, v38
	v_add_nc_u32_e32 v39, v42, v41
	s_lshl_b64 s[12:13], s[30:31], 2
	s_sub_co_i32 s48, 0, s28
	s_lshl_b64 s[8:9], s[8:9], 2
	s_sub_nc_u64 s[22:23], 0, s[18:19]
	s_add_co_i32 s29, s28, 4
	s_lshl_b64 s[20:21], s[16:17], 2
	s_wait_alu 0xfffe
	s_sub_nc_u64 s[30:31], 0, s[12:13]
	s_branch .LBB2_4
.LBB2_2:                                ;   in Loop: Header=BB2_4 Depth=1
	s_wait_alu 0xfffe
	s_or_b32 exec_lo, exec_lo, s27
.LBB2_3:                                ;   in Loop: Header=BB2_4 Depth=1
	s_add_co_i32 s24, s24, 0x10000
	s_delay_alu instid0(SALU_CYCLE_1)
	s_cmp_lt_u32 s24, s33
	s_cbranch_scc0 .LBB2_81
.LBB2_4:                                ; =>This Loop Header: Depth=1
                                        ;     Child Loop BB2_9 Depth 2
                                        ;     Child Loop BB2_13 Depth 2
	;; [unrolled: 1-line block ×5, first 2 shown]
                                        ;       Child Loop BB2_41 Depth 3
                                        ;     Child Loop BB2_48 Depth 2
                                        ;     Child Loop BB2_55 Depth 2
                                        ;     Child Loop BB2_64 Depth 2
                                        ;     Child Loop BB2_69 Depth 2
                                        ;     Child Loop BB2_75 Depth 2
                                        ;     Child Loop BB2_80 Depth 2
	s_and_not1_b32 vcc_lo, exec_lo, s44
	s_wait_alu 0xfffe
	s_cbranch_vccnz .LBB2_3
; %bb.5:                                ;   in Loop: Header=BB2_4 Depth=1
	s_mul_u64 s[34:35], s[8:9], s[24:25]
	s_and_saveexec_b32 s7, s3
	s_wait_alu 0xfffe
	s_xor_b32 s7, exec_lo, s7
	s_cbranch_execz .LBB2_15
; %bb.6:                                ;   in Loop: Header=BB2_4 Depth=1
	s_and_saveexec_b32 s27, s0
	s_cbranch_execz .LBB2_14
; %bb.7:                                ;   in Loop: Header=BB2_4 Depth=1
	s_and_not1_b32 vcc_lo, exec_lo, s45
	s_mov_b32 s36, -1
	s_wait_alu 0xfffe
	s_cbranch_vccnz .LBB2_11
; %bb.8:                                ;   in Loop: Header=BB2_4 Depth=1
	v_add_co_u32 v4, vcc_lo, v12, s34
	s_wait_alu 0xfffd
	v_add_co_ci_u32_e64 v5, null, s35, v13, vcc_lo
	v_mov_b32_e32 v40, v10
	s_mov_b32 s36, s47
.LBB2_9:                                ;   Parent Loop BB2_4 Depth=1
                                        ; =>  This Inner Loop Header: Depth=2
	global_load_b32 v41, v[4:5], off
	v_add_co_u32 v4, vcc_lo, v4, s22
	s_wait_alu 0xfffd
	v_add_co_ci_u32_e64 v5, null, s23, v5, vcc_lo
	s_wait_alu 0xfffe
	s_add_co_i32 s36, s36, -1
	s_wait_alu 0xfffe
	s_cmp_gt_u32 s36, 1
	s_wait_loadcnt 0x0
	ds_store_b32 v40, v41
	v_add_nc_u32_e32 v40, s48, v40
	s_cbranch_scc1 .LBB2_9
; %bb.10:                               ;   in Loop: Header=BB2_4 Depth=1
	s_mov_b32 s36, 0
.LBB2_11:                               ;   in Loop: Header=BB2_4 Depth=1
	s_wait_alu 0xfffe
	s_and_b32 vcc_lo, exec_lo, s36
	s_wait_alu 0xfffe
	s_cbranch_vccz .LBB2_14
; %bb.12:                               ;   in Loop: Header=BB2_4 Depth=1
	v_add_co_u32 v4, vcc_lo, v14, s34
	s_wait_alu 0xfffd
	v_add_co_ci_u32_e64 v5, null, s35, v15, vcc_lo
	v_mov_b32_e32 v40, v7
	s_mov_b32 s36, s26
.LBB2_13:                               ;   Parent Loop BB2_4 Depth=1
                                        ; =>  This Inner Loop Header: Depth=2
	global_load_b32 v41, v[4:5], off
	v_add_co_u32 v4, vcc_lo, v4, s18
	s_wait_alu 0xfffd
	v_add_co_ci_u32_e64 v5, null, s19, v5, vcc_lo
	s_wait_alu 0xfffe
	s_add_co_i32 s36, s36, -1
	s_wait_alu 0xfffe
	s_cmp_eq_u32 s36, 0
	s_wait_loadcnt 0x0
	ds_store_b32 v40, v41
	v_add_nc_u32_e32 v40, s28, v40
	s_cbranch_scc0 .LBB2_13
.LBB2_14:                               ;   in Loop: Header=BB2_4 Depth=1
	s_wait_alu 0xfffe
	s_or_b32 exec_lo, exec_lo, s27
.LBB2_15:                               ;   in Loop: Header=BB2_4 Depth=1
	s_wait_alu 0xfffe
	s_and_not1_saveexec_b32 s7, s7
	s_cbranch_execz .LBB2_27
; %bb.16:                               ;   in Loop: Header=BB2_4 Depth=1
	s_and_b32 vcc_lo, exec_lo, s45
	s_mov_b32 s27, -1
	s_wait_alu 0xfffe
	s_cbranch_vccz .LBB2_22
; %bb.17:                               ;   in Loop: Header=BB2_4 Depth=1
	v_add_co_u32 v4, vcc_lo, v16, s34
	s_wait_alu 0xfffd
	v_add_co_ci_u32_e64 v5, null, s35, v17, vcc_lo
	v_mov_b32_e32 v40, v18
	s_mov_b32 s27, s26
	s_branch .LBB2_19
.LBB2_18:                               ;   in Loop: Header=BB2_19 Depth=2
	s_or_b32 exec_lo, exec_lo, s36
	v_add_co_u32 v4, vcc_lo, v4, s22
	s_wait_loadcnt 0x0
	ds_store_b32 v40, v41
	s_wait_alu 0xfffd
	v_add_co_ci_u32_e64 v5, null, s23, v5, vcc_lo
	v_add_nc_u32_e32 v40, s28, v40
	s_cmp_lt_i32 s27, 1
	s_cbranch_scc1 .LBB2_21
.LBB2_19:                               ;   Parent Loop BB2_4 Depth=1
                                        ; =>  This Inner Loop Header: Depth=2
	v_mov_b32_e32 v41, 0
	s_wait_alu 0xfffe
	s_add_co_i32 s27, s27, -1
	s_mov_b32 s36, exec_lo
	s_wait_alu 0xfffe
	v_cmpx_ge_i32_e64 s27, v1
	s_cbranch_execz .LBB2_18
; %bb.20:                               ;   in Loop: Header=BB2_19 Depth=2
	global_load_b32 v41, v[4:5], off
	s_branch .LBB2_18
.LBB2_21:                               ;   in Loop: Header=BB2_4 Depth=1
	s_mov_b32 s27, 0
.LBB2_22:                               ;   in Loop: Header=BB2_4 Depth=1
	s_wait_alu 0xfffe
	s_and_b32 vcc_lo, exec_lo, s27
	s_wait_alu 0xfffe
	s_cbranch_vccz .LBB2_27
; %bb.23:                               ;   in Loop: Header=BB2_4 Depth=1
	v_add_co_u32 v4, vcc_lo, v19, s34
	s_wait_alu 0xfffd
	v_add_co_ci_u32_e64 v5, null, s35, v20, vcc_lo
	v_mov_b32_e32 v40, v7
	s_mov_b32 s27, 0
	s_branch .LBB2_25
.LBB2_24:                               ;   in Loop: Header=BB2_25 Depth=2
	s_or_b32 exec_lo, exec_lo, s34
	v_add_co_u32 v4, vcc_lo, v4, s18
	s_wait_loadcnt 0x0
	ds_store_b32 v40, v41
	s_wait_alu 0xfffd
	v_add_co_ci_u32_e64 v5, null, s19, v5, vcc_lo
	v_add_nc_u32_e32 v40, s28, v40
	s_add_co_i32 s27, s27, 1
	s_wait_alu 0xfffe
	s_cmp_eq_u32 s26, s27
	s_cbranch_scc1 .LBB2_27
.LBB2_25:                               ;   Parent Loop BB2_4 Depth=1
                                        ; =>  This Inner Loop Header: Depth=2
	v_mov_b32_e32 v41, 0
	s_mov_b32 s34, exec_lo
	s_wait_alu 0xfffe
	v_cmpx_le_i32_e64 s27, v1
	s_cbranch_execz .LBB2_24
; %bb.26:                               ;   in Loop: Header=BB2_25 Depth=2
	global_load_b32 v41, v[4:5], off
	s_branch .LBB2_24
.LBB2_27:                               ;   in Loop: Header=BB2_4 Depth=1
	s_wait_alu 0xfffe
	s_or_b32 exec_lo, exec_lo, s7
	s_wait_dscnt 0x0
	s_barrier_signal -1
	s_barrier_wait -1
	global_inv scope:SCOPE_SE
	s_and_saveexec_b32 s7, s2
	s_cbranch_execz .LBB2_33
; %bb.28:                               ;   in Loop: Header=BB2_4 Depth=1
	v_mov_b32_e32 v5, 1.0
	s_and_not1_b32 vcc_lo, exec_lo, s46
	s_wait_alu 0xfffe
	s_cbranch_vccnz .LBB2_32
; %bb.29:                               ;   in Loop: Header=BB2_4 Depth=1
	ds_load_b32 v4, v9
	v_mov_b32_e32 v5, 1.0
	s_mov_b32 s27, exec_lo
	s_wait_dscnt 0x0
	v_cmpx_neq_f32_e32 0, v4
	s_cbranch_execz .LBB2_31
; %bb.30:                               ;   in Loop: Header=BB2_4 Depth=1
	v_div_scale_f32 v5, null, v4, v4, 1.0
	s_delay_alu instid0(VALU_DEP_1) | instskip(NEXT) | instid1(TRANS32_DEP_1)
	v_rcp_f32_e32 v40, v5
	v_fma_f32 v41, -v5, v40, 1.0
	s_delay_alu instid0(VALU_DEP_1) | instskip(SKIP_1) | instid1(VALU_DEP_1)
	v_fmac_f32_e32 v40, v41, v40
	v_div_scale_f32 v41, vcc_lo, 1.0, v4, 1.0
	v_mul_f32_e32 v42, v41, v40
	s_delay_alu instid0(VALU_DEP_1) | instskip(NEXT) | instid1(VALU_DEP_1)
	v_fma_f32 v43, -v5, v42, v41
	v_fmac_f32_e32 v42, v43, v40
	s_delay_alu instid0(VALU_DEP_1) | instskip(SKIP_1) | instid1(VALU_DEP_1)
	v_fma_f32 v5, -v5, v42, v41
	s_wait_alu 0xfffd
	v_div_fmas_f32 v5, v5, v40, v42
	s_delay_alu instid0(VALU_DEP_1)
	v_div_fixup_f32 v5, v5, v4, 1.0
.LBB2_31:                               ;   in Loop: Header=BB2_4 Depth=1
	s_wait_alu 0xfffe
	s_or_b32 exec_lo, exec_lo, s27
.LBB2_32:                               ;   in Loop: Header=BB2_4 Depth=1
	ds_store_b32 v9, v5
.LBB2_33:                               ;   in Loop: Header=BB2_4 Depth=1
	s_wait_alu 0xfffe
	s_or_b32 exec_lo, exec_lo, s7
	s_wait_loadcnt_dscnt 0x0
	s_barrier_signal -1
	s_barrier_wait -1
	global_inv scope:SCOPE_SE
	s_and_saveexec_b32 s7, s2
	s_cbranch_execz .LBB2_45
; %bb.34:                               ;   in Loop: Header=BB2_4 Depth=1
	v_dual_mov_b32 v4, v22 :: v_dual_mov_b32 v5, v21
	s_mov_b32 s27, 0
	s_branch .LBB2_36
.LBB2_35:                               ;   in Loop: Header=BB2_36 Depth=2
	v_add_nc_u32_e32 v5, s29, v5
	v_add_nc_u32_e32 v4, s28, v4
	s_cmp_eq_u32 s27, s26
	s_cbranch_scc1 .LBB2_45
.LBB2_36:                               ;   Parent Loop BB2_4 Depth=1
                                        ; =>  This Loop Header: Depth=2
                                        ;       Child Loop BB2_41 Depth 3
	v_mov_b32_e32 v40, 0
	s_wait_alu 0xfffe
	s_mul_i32 s34, s27, s26
	s_mov_b32 s35, exec_lo
	v_cmpx_lt_i32_e64 s27, v1
	s_cbranch_execz .LBB2_38
; %bb.37:                               ;   in Loop: Header=BB2_36 Depth=2
	s_wait_alu 0xfffe
	s_lshl_b32 s36, s34, 2
	s_lshl_b32 s37, s27, 2
	s_wait_alu 0xfffe
	v_add_nc_u32_e32 v40, s36, v7
	v_add3_u32 v41, s36, s37, v6
	ds_load_b32 v40, v40
	ds_load_b32 v41, v41
	s_wait_dscnt 0x0
	v_fma_f32 v40, v40, v41, 0
.LBB2_38:                               ;   in Loop: Header=BB2_36 Depth=2
	s_wait_alu 0xfffe
	s_or_b32 exec_lo, exec_lo, s35
	s_add_co_i32 s27, s27, 1
	s_wait_alu 0xfffe
	s_cmp_ge_u32 s27, s26
	s_cbranch_scc1 .LBB2_35
; %bb.39:                               ;   in Loop: Header=BB2_36 Depth=2
	v_lshl_add_u32 v41, s34, 2, v7
	v_dual_mov_b32 v42, v4 :: v_dual_mov_b32 v43, v5
	s_mov_b32 s34, s27
	s_branch .LBB2_41
.LBB2_40:                               ;   in Loop: Header=BB2_41 Depth=3
	s_wait_alu 0xfffe
	s_or_b32 exec_lo, exec_lo, s35
	v_add_nc_u32_e32 v43, 4, v43
	v_add_nc_u32_e32 v42, s28, v42
	s_add_co_i32 s34, s34, 1
	s_wait_alu 0xfffe
	s_cmp_eq_u32 s26, s34
	s_cbranch_scc1 .LBB2_35
.LBB2_41:                               ;   Parent Loop BB2_4 Depth=1
                                        ;     Parent Loop BB2_36 Depth=2
                                        ; =>    This Inner Loop Header: Depth=3
	s_mov_b32 s35, exec_lo
	s_wait_alu 0xfffe
	v_cmpx_eq_u32_e64 s34, v1
	s_cbranch_execz .LBB2_43
; %bb.42:                               ;   in Loop: Header=BB2_41 Depth=3
	ds_load_b32 v44, v9
	s_wait_dscnt 0x0
	v_mul_f32_e64 v44, -v40, v44
	ds_store_b32 v41, v44
.LBB2_43:                               ;   in Loop: Header=BB2_41 Depth=3
	s_or_b32 exec_lo, exec_lo, s35
	s_delay_alu instid0(SALU_CYCLE_1)
	s_mov_b32 s35, exec_lo
	v_cmpx_lt_i32_e64 s34, v1
	s_cbranch_execz .LBB2_40
; %bb.44:                               ;   in Loop: Header=BB2_41 Depth=3
	ds_load_b32 v44, v42
	ds_load_b32 v45, v43
	s_wait_dscnt 0x0
	v_fmac_f32_e32 v40, v44, v45
	s_branch .LBB2_40
.LBB2_45:                               ;   in Loop: Header=BB2_4 Depth=1
	s_wait_alu 0xfffe
	s_or_b32 exec_lo, exec_lo, s7
	s_delay_alu instid0(SALU_CYCLE_1)
	s_and_b32 vcc_lo, exec_lo, s45
	s_mov_b32 s7, -1
	s_wait_loadcnt_dscnt 0x0
	s_barrier_signal -1
	s_barrier_wait -1
	global_inv scope:SCOPE_SE
	s_wait_alu 0xfffe
	s_cbranch_vccz .LBB2_51
; %bb.46:                               ;   in Loop: Header=BB2_4 Depth=1
	s_and_saveexec_b32 s7, s1
	s_cbranch_execz .LBB2_50
; %bb.47:                               ;   in Loop: Header=BB2_4 Depth=1
	v_dual_mov_b32 v4, 0 :: v_dual_mov_b32 v5, v11
	v_mov_b32_e32 v40, v23
	s_mov_b32 s34, -1
	s_mov_b32 s27, 0
.LBB2_48:                               ;   Parent Loop BB2_4 Depth=1
                                        ; =>  This Inner Loop Header: Depth=2
	ds_load_b32 v41, v5
	ds_load_b32 v42, v40
	s_wait_alu 0xfffe
	s_add_co_i32 s34, s34, 1
	v_add_nc_u32_e32 v40, -4, v40
	s_wait_alu 0xfffe
	v_cmp_ge_u32_e32 vcc_lo, s34, v0
	v_add_nc_u32_e32 v5, 64, v5
	s_or_b32 s27, vcc_lo, s27
	s_wait_dscnt 0x0
	v_fmac_f32_e32 v4, v41, v42
	s_wait_alu 0xfffe
	s_and_not1_b32 exec_lo, exec_lo, s27
	s_cbranch_execnz .LBB2_48
; %bb.49:                               ;   in Loop: Header=BB2_4 Depth=1
	s_or_b32 exec_lo, exec_lo, s27
	ds_store_b32 v39, v4
.LBB2_50:                               ;   in Loop: Header=BB2_4 Depth=1
	s_wait_alu 0xfffe
	s_or_b32 exec_lo, exec_lo, s7
	s_mov_b32 s7, 0
.LBB2_51:                               ;   in Loop: Header=BB2_4 Depth=1
	s_wait_alu 0xfffe
	s_and_not1_b32 vcc_lo, exec_lo, s7
	s_wait_alu 0xfffe
	s_cbranch_vccnz .LBB2_59
; %bb.52:                               ;   in Loop: Header=BB2_4 Depth=1
	s_and_saveexec_b32 s7, s1
	s_cbranch_execz .LBB2_58
; %bb.53:                               ;   in Loop: Header=BB2_4 Depth=1
	v_mov_b32_e32 v4, 0
	s_and_saveexec_b32 s27, s6
	s_cbranch_execz .LBB2_57
; %bb.54:                               ;   in Loop: Header=BB2_4 Depth=1
	v_dual_mov_b32 v4, 0 :: v_dual_mov_b32 v5, v26
	v_dual_mov_b32 v40, v25 :: v_dual_mov_b32 v41, v24
	s_mov_b32 s34, 0
.LBB2_55:                               ;   Parent Loop BB2_4 Depth=1
                                        ; =>  This Inner Loop Header: Depth=2
	ds_load_b32 v42, v5
	ds_load_b32 v43, v40
	v_add_nc_u32_e32 v41, 1, v41
	v_add_nc_u32_e32 v40, 4, v40
	s_wait_dscnt 0x0
	v_dual_fmac_f32 v4, v42, v43 :: v_dual_add_nc_u32 v5, 64, v5
	s_delay_alu instid0(VALU_DEP_3)
	v_cmp_lt_u32_e32 vcc_lo, 14, v41
	s_wait_alu 0xfffe
	s_or_b32 s34, vcc_lo, s34
	s_wait_alu 0xfffe
	s_and_not1_b32 exec_lo, exec_lo, s34
	s_cbranch_execnz .LBB2_55
; %bb.56:                               ;   in Loop: Header=BB2_4 Depth=1
	s_or_b32 exec_lo, exec_lo, s34
.LBB2_57:                               ;   in Loop: Header=BB2_4 Depth=1
	s_wait_alu 0xfffe
	s_or_b32 exec_lo, exec_lo, s27
	ds_store_b32 v39, v4
.LBB2_58:                               ;   in Loop: Header=BB2_4 Depth=1
	s_wait_alu 0xfffe
	s_or_b32 exec_lo, exec_lo, s7
.LBB2_59:                               ;   in Loop: Header=BB2_4 Depth=1
	s_mul_u64 s[34:35], s[16:17], s[24:25]
	s_and_b32 vcc_lo, exec_lo, s45
	s_wait_alu 0xfffe
	s_lshl_b64 s[34:35], s[34:35], 2
	s_mov_b32 s7, -1
	s_wait_alu 0xfffe
	s_add_nc_u64 s[34:35], s[10:11], s[34:35]
	s_wait_loadcnt_dscnt 0x0
	s_barrier_signal -1
	s_barrier_wait -1
	global_inv scope:SCOPE_SE
	s_cbranch_vccnz .LBB2_62
; %bb.60:                               ;   in Loop: Header=BB2_4 Depth=1
	s_and_not1_b32 vcc_lo, exec_lo, s7
	s_wait_alu 0xfffe
	s_cbranch_vccz .LBB2_67
.LBB2_61:                               ;   in Loop: Header=BB2_4 Depth=1
	s_and_saveexec_b32 s27, s2
	s_cbranch_execz .LBB2_2
	s_branch .LBB2_72
.LBB2_62:                               ;   in Loop: Header=BB2_4 Depth=1
	s_and_saveexec_b32 s7, s1
	s_cbranch_execz .LBB2_66
; %bb.63:                               ;   in Loop: Header=BB2_4 Depth=1
	v_dual_mov_b32 v4, 0 :: v_dual_mov_b32 v5, v29
	v_dual_mov_b32 v40, v28 :: v_dual_mov_b32 v41, v27
	s_mov_b32 s27, 0
.LBB2_64:                               ;   Parent Loop BB2_4 Depth=1
                                        ; =>  This Inner Loop Header: Depth=2
	ds_load_b32 v42, v5
	ds_load_b32 v43, v40
	v_add_nc_u32_e32 v41, 1, v41
	v_add_nc_u32_e32 v40, 4, v40
	;; [unrolled: 1-line block ×3, first 2 shown]
	s_delay_alu instid0(VALU_DEP_3)
	v_cmp_lt_u32_e32 vcc_lo, 14, v41
	s_wait_alu 0xfffe
	s_or_b32 s27, vcc_lo, s27
	s_wait_dscnt 0x0
	v_fma_f32 v4, -v42, v43, v4
	s_wait_alu 0xfffe
	s_and_not1_b32 exec_lo, exec_lo, s27
	s_cbranch_execnz .LBB2_64
; %bb.65:                               ;   in Loop: Header=BB2_4 Depth=1
	s_or_b32 exec_lo, exec_lo, s27
	s_lshl_b64 s[36:37], s[14:15], 2
	s_wait_alu 0xfffe
	s_add_nc_u64 s[36:37], s[34:35], s[36:37]
	s_wait_alu 0xfffe
	v_add_co_u32 v5, s27, s36, v37
	s_wait_alu 0xf1ff
	v_add_co_ci_u32_e64 v41, null, s37, 0, s27
	s_delay_alu instid0(VALU_DEP_2) | instskip(SKIP_1) | instid1(VALU_DEP_2)
	v_add_co_u32 v40, vcc_lo, v5, v2
	s_wait_alu 0xfffd
	v_add_co_ci_u32_e64 v41, null, v41, v3, vcc_lo
	global_store_b32 v[40:41], v4, off
.LBB2_66:                               ;   in Loop: Header=BB2_4 Depth=1
	s_wait_alu 0xfffe
	s_or_b32 exec_lo, exec_lo, s7
	s_cbranch_execnz .LBB2_61
.LBB2_67:                               ;   in Loop: Header=BB2_4 Depth=1
	s_and_saveexec_b32 s7, s1
	s_cbranch_execz .LBB2_71
; %bb.68:                               ;   in Loop: Header=BB2_4 Depth=1
	v_dual_mov_b32 v4, 0 :: v_dual_mov_b32 v5, v31
	v_mov_b32_e32 v40, v30
	s_mov_b32 s36, -1
	s_mov_b32 s27, 0
.LBB2_69:                               ;   Parent Loop BB2_4 Depth=1
                                        ; =>  This Inner Loop Header: Depth=2
	ds_load_b32 v41, v5
	ds_load_b32 v42, v40
	s_wait_alu 0xfffe
	s_add_co_i32 s36, s36, 1
	v_add_nc_u32_e32 v40, 4, v40
	s_wait_alu 0xfffe
	v_cmp_ge_u32_e32 vcc_lo, s36, v8
	v_add_nc_u32_e32 v5, s28, v5
	s_or_b32 s27, vcc_lo, s27
	s_wait_dscnt 0x0
	v_fma_f32 v4, -v41, v42, v4
	s_wait_alu 0xfffe
	s_and_not1_b32 exec_lo, exec_lo, s27
	s_cbranch_execnz .LBB2_69
; %bb.70:                               ;   in Loop: Header=BB2_4 Depth=1
	s_or_b32 exec_lo, exec_lo, s27
	v_add_co_u32 v5, vcc_lo, s34, v2
	s_wait_alu 0xfffd
	v_add_co_ci_u32_e64 v41, null, s35, v3, vcc_lo
	s_delay_alu instid0(VALU_DEP_2) | instskip(SKIP_1) | instid1(VALU_DEP_2)
	v_add_co_u32 v40, vcc_lo, v5, v38
	s_wait_alu 0xfffd
	v_add_co_ci_u32_e64 v41, null, 0, v41, vcc_lo
	global_store_b32 v[40:41], v4, off
.LBB2_71:                               ;   in Loop: Header=BB2_4 Depth=1
	s_wait_alu 0xfffe
	s_or_b32 exec_lo, exec_lo, s7
	s_and_saveexec_b32 s27, s2
	s_cbranch_execz .LBB2_2
.LBB2_72:                               ;   in Loop: Header=BB2_4 Depth=1
	s_mul_u64 s[34:35], s[20:21], s[24:25]
	s_and_b32 vcc_lo, exec_lo, s45
	s_mov_b32 s7, -1
	s_wait_alu 0xfffe
	s_cbranch_vccz .LBB2_77
; %bb.73:                               ;   in Loop: Header=BB2_4 Depth=1
	s_and_saveexec_b32 s36, s4
	s_cbranch_execz .LBB2_76
; %bb.74:                               ;   in Loop: Header=BB2_4 Depth=1
	v_add_co_u32 v4, vcc_lo, v32, s34
	s_wait_alu 0xfffd
	v_add_co_ci_u32_e64 v5, null, s35, v33, vcc_lo
	v_mov_b32_e32 v40, v18
	s_mov_b32 s37, 0
	s_mov_b32 s38, s26
.LBB2_75:                               ;   Parent Loop BB2_4 Depth=1
                                        ; =>  This Inner Loop Header: Depth=2
	ds_load_b32 v41, v40
	s_wait_alu 0xfffe
	s_add_co_i32 s38, s38, -1
	v_add_nc_u32_e32 v40, s28, v40
	s_wait_alu 0xfffe
	v_cmp_le_i32_e32 vcc_lo, s38, v1
	s_or_b32 s37, vcc_lo, s37
	s_wait_dscnt 0x0
	global_store_b32 v[4:5], v41, off
	v_add_co_u32 v4, s7, v4, s30
	s_wait_alu 0xf1ff
	v_add_co_ci_u32_e64 v5, null, s31, v5, s7
	s_wait_alu 0xfffe
	s_and_not1_b32 exec_lo, exec_lo, s37
	s_cbranch_execnz .LBB2_75
.LBB2_76:                               ;   in Loop: Header=BB2_4 Depth=1
	s_wait_alu 0xfffe
	s_or_b32 exec_lo, exec_lo, s36
	s_mov_b32 s7, 0
.LBB2_77:                               ;   in Loop: Header=BB2_4 Depth=1
	s_wait_alu 0xfffe
	s_and_not1_b32 vcc_lo, exec_lo, s7
	s_wait_alu 0xfffe
	s_cbranch_vccnz .LBB2_2
; %bb.78:                               ;   in Loop: Header=BB2_4 Depth=1
	s_and_b32 exec_lo, exec_lo, s5
	s_cbranch_execz .LBB2_2
; %bb.79:                               ;   in Loop: Header=BB2_4 Depth=1
	v_add_co_u32 v4, vcc_lo, v35, s34
	s_wait_alu 0xfffd
	v_add_co_ci_u32_e64 v5, null, s35, v36, vcc_lo
	v_dual_mov_b32 v40, v7 :: v_dual_mov_b32 v41, v34
	s_mov_b32 s34, 0
.LBB2_80:                               ;   Parent Loop BB2_4 Depth=1
                                        ; =>  This Inner Loop Header: Depth=2
	ds_load_b32 v42, v40
	v_add_nc_u32_e32 v41, -1, v41
	v_add_nc_u32_e32 v40, s28, v40
	s_delay_alu instid0(VALU_DEP_2)
	v_cmp_eq_u32_e32 vcc_lo, 0, v41
	s_wait_alu 0xfffe
	s_or_b32 s34, vcc_lo, s34
	s_wait_dscnt 0x0
	global_store_b32 v[4:5], v42, off
	v_add_co_u32 v4, s7, v4, s12
	s_wait_alu 0xf1ff
	v_add_co_ci_u32_e64 v5, null, s13, v5, s7
	s_wait_alu 0xfffe
	s_and_not1_b32 exec_lo, exec_lo, s34
	s_cbranch_execnz .LBB2_80
	s_branch .LBB2_2
.LBB2_81:
	s_endpgm
	.section	.rodata,"a",@progbits
	.p2align	6, 0x0
	.amdhsa_kernel _ZL29rocblas_trtri_diagonal_kernelILi16EfPKfPfEv13rocblas_fill_17rocblas_diagonal_iT1_lillT2_lilli
		.amdhsa_group_segment_fixed_size 4096
		.amdhsa_private_segment_fixed_size 0
		.amdhsa_kernarg_size 100
		.amdhsa_user_sgpr_count 2
		.amdhsa_user_sgpr_dispatch_ptr 0
		.amdhsa_user_sgpr_queue_ptr 0
		.amdhsa_user_sgpr_kernarg_segment_ptr 1
		.amdhsa_user_sgpr_dispatch_id 0
		.amdhsa_user_sgpr_private_segment_size 0
		.amdhsa_wavefront_size32 1
		.amdhsa_uses_dynamic_stack 0
		.amdhsa_enable_private_segment 0
		.amdhsa_system_sgpr_workgroup_id_x 1
		.amdhsa_system_sgpr_workgroup_id_y 0
		.amdhsa_system_sgpr_workgroup_id_z 1
		.amdhsa_system_sgpr_workgroup_info 0
		.amdhsa_system_vgpr_workitem_id 0
		.amdhsa_next_free_vgpr 46
		.amdhsa_next_free_sgpr 53
		.amdhsa_reserve_vcc 1
		.amdhsa_float_round_mode_32 0
		.amdhsa_float_round_mode_16_64 0
		.amdhsa_float_denorm_mode_32 3
		.amdhsa_float_denorm_mode_16_64 3
		.amdhsa_fp16_overflow 0
		.amdhsa_workgroup_processor_mode 1
		.amdhsa_memory_ordered 1
		.amdhsa_forward_progress 1
		.amdhsa_inst_pref_size 29
		.amdhsa_round_robin_scheduling 0
		.amdhsa_exception_fp_ieee_invalid_op 0
		.amdhsa_exception_fp_denorm_src 0
		.amdhsa_exception_fp_ieee_div_zero 0
		.amdhsa_exception_fp_ieee_overflow 0
		.amdhsa_exception_fp_ieee_underflow 0
		.amdhsa_exception_fp_ieee_inexact 0
		.amdhsa_exception_int_div_zero 0
	.end_amdhsa_kernel
	.section	.text._ZL29rocblas_trtri_diagonal_kernelILi16EfPKfPfEv13rocblas_fill_17rocblas_diagonal_iT1_lillT2_lilli,"axG",@progbits,_ZL29rocblas_trtri_diagonal_kernelILi16EfPKfPfEv13rocblas_fill_17rocblas_diagonal_iT1_lillT2_lilli,comdat
.Lfunc_end2:
	.size	_ZL29rocblas_trtri_diagonal_kernelILi16EfPKfPfEv13rocblas_fill_17rocblas_diagonal_iT1_lillT2_lilli, .Lfunc_end2-_ZL29rocblas_trtri_diagonal_kernelILi16EfPKfPfEv13rocblas_fill_17rocblas_diagonal_iT1_lillT2_lilli
                                        ; -- End function
	.set _ZL29rocblas_trtri_diagonal_kernelILi16EfPKfPfEv13rocblas_fill_17rocblas_diagonal_iT1_lillT2_lilli.num_vgpr, 46
	.set _ZL29rocblas_trtri_diagonal_kernelILi16EfPKfPfEv13rocblas_fill_17rocblas_diagonal_iT1_lillT2_lilli.num_agpr, 0
	.set _ZL29rocblas_trtri_diagonal_kernelILi16EfPKfPfEv13rocblas_fill_17rocblas_diagonal_iT1_lillT2_lilli.numbered_sgpr, 53
	.set _ZL29rocblas_trtri_diagonal_kernelILi16EfPKfPfEv13rocblas_fill_17rocblas_diagonal_iT1_lillT2_lilli.num_named_barrier, 0
	.set _ZL29rocblas_trtri_diagonal_kernelILi16EfPKfPfEv13rocblas_fill_17rocblas_diagonal_iT1_lillT2_lilli.private_seg_size, 0
	.set _ZL29rocblas_trtri_diagonal_kernelILi16EfPKfPfEv13rocblas_fill_17rocblas_diagonal_iT1_lillT2_lilli.uses_vcc, 1
	.set _ZL29rocblas_trtri_diagonal_kernelILi16EfPKfPfEv13rocblas_fill_17rocblas_diagonal_iT1_lillT2_lilli.uses_flat_scratch, 0
	.set _ZL29rocblas_trtri_diagonal_kernelILi16EfPKfPfEv13rocblas_fill_17rocblas_diagonal_iT1_lillT2_lilli.has_dyn_sized_stack, 0
	.set _ZL29rocblas_trtri_diagonal_kernelILi16EfPKfPfEv13rocblas_fill_17rocblas_diagonal_iT1_lillT2_lilli.has_recursion, 0
	.set _ZL29rocblas_trtri_diagonal_kernelILi16EfPKfPfEv13rocblas_fill_17rocblas_diagonal_iT1_lillT2_lilli.has_indirect_call, 0
	.section	.AMDGPU.csdata,"",@progbits
; Kernel info:
; codeLenInByte = 3648
; TotalNumSgprs: 55
; NumVgprs: 46
; ScratchSize: 0
; MemoryBound: 0
; FloatMode: 240
; IeeeMode: 1
; LDSByteSize: 4096 bytes/workgroup (compile time only)
; SGPRBlocks: 0
; VGPRBlocks: 5
; NumSGPRsForWavesPerEU: 55
; NumVGPRsForWavesPerEU: 46
; Occupancy: 16
; WaveLimiterHint : 0
; COMPUTE_PGM_RSRC2:SCRATCH_EN: 0
; COMPUTE_PGM_RSRC2:USER_SGPR: 2
; COMPUTE_PGM_RSRC2:TRAP_HANDLER: 0
; COMPUTE_PGM_RSRC2:TGID_X_EN: 1
; COMPUTE_PGM_RSRC2:TGID_Y_EN: 0
; COMPUTE_PGM_RSRC2:TGID_Z_EN: 1
; COMPUTE_PGM_RSRC2:TIDIG_COMP_CNT: 0
	.section	.text._ZL30rocblas_trtri_remainder_kernelILi16EfPKfPfEv13rocblas_fill_17rocblas_diagonal_iT1_lillT2_lilli,"axG",@progbits,_ZL30rocblas_trtri_remainder_kernelILi16EfPKfPfEv13rocblas_fill_17rocblas_diagonal_iT1_lillT2_lilli,comdat
	.globl	_ZL30rocblas_trtri_remainder_kernelILi16EfPKfPfEv13rocblas_fill_17rocblas_diagonal_iT1_lillT2_lilli ; -- Begin function _ZL30rocblas_trtri_remainder_kernelILi16EfPKfPfEv13rocblas_fill_17rocblas_diagonal_iT1_lillT2_lilli
	.p2align	8
	.type	_ZL30rocblas_trtri_remainder_kernelILi16EfPKfPfEv13rocblas_fill_17rocblas_diagonal_iT1_lillT2_lilli,@function
_ZL30rocblas_trtri_remainder_kernelILi16EfPKfPfEv13rocblas_fill_17rocblas_diagonal_iT1_lillT2_lilli: ; @_ZL30rocblas_trtri_remainder_kernelILi16EfPKfPfEv13rocblas_fill_17rocblas_diagonal_iT1_lillT2_lilli
; %bb.0:
	s_load_b32 s23, s[0:1], 0x60
	s_lshr_b32 s2, ttmp7, 16
	s_wait_kmcnt 0x0
	s_cmp_ge_u32 s2, s23
	s_cbranch_scc1 .LBB3_38
; %bb.1:
	s_clause 0x5
	s_load_b32 s28, s[0:1], 0x20
	s_load_b32 s30, s[0:1], 0x48
	s_load_b96 s[20:22], s[0:1], 0x0
	s_load_b256 s[4:11], s[0:1], 0x28
	s_load_b128 s[16:19], s[0:1], 0x10
	s_load_b128 s[12:15], s[0:1], 0x50
	s_mov_b32 s3, 0
	s_mov_b32 s26, ttmp9
	s_mov_b32 s27, s3
	s_mov_b32 s35, s3
	v_lshlrev_b32_e32 v3, 2, v0
	v_add_nc_u32_e32 v8, 1, v0
	s_wait_kmcnt 0x0
	s_ashr_i32 s29, s28, 31
	s_ashr_i32 s31, s30, 31
	s_cmp_gt_i32 s22, 0
	s_mul_u64 s[6:7], s[6:7], s[26:27]
	s_cselect_b32 s24, -1, 0
	s_cmp_lg_u32 s20, 0x7a
	s_mul_u64 s[14:15], s[14:15], s[26:27]
	s_cselect_b32 s20, -1, 0
	s_add_co_i32 s34, s22, -1
	s_cmp_lg_u32 s21, 0x84
	s_mul_u64 s[36:37], s[28:29], s[34:35]
	s_cselect_b32 s21, -1, 0
	s_lshl_b64 s[6:7], s[6:7], 2
	s_lshl_b64 s[18:19], s[18:19], 2
	;; [unrolled: 1-line block ×3, first 2 shown]
	s_add_nc_u64 s[38:39], s[6:7], s[18:19]
	s_lshl_b64 s[14:15], s[14:15], 2
	s_add_nc_u64 s[6:7], s[38:39], s[36:37]
	s_lshl_b64 s[10:11], s[10:11], 2
	s_add_nc_u64 s[6:7], s[16:17], s[6:7]
	s_add_nc_u64 s[16:17], s[16:17], s[38:39]
	v_add_co_u32 v6, s1, s6, v3
	s_delay_alu instid0(VALU_DEP_1)
	v_add_co_ci_u32_e64 v7, null, s7, 0, s1
	v_add_co_u32 v9, s1, s16, v3
	s_wait_alu 0xf1ff
	v_add_co_ci_u32_e64 v10, null, s17, 0, s1
	s_mul_u64 s[16:17], s[30:31], s[34:35]
	s_add_nc_u64 s[10:11], s[14:15], s[10:11]
	s_wait_alu 0xfffe
	s_lshl_b64 s[26:27], s[16:17], 2
	v_mul_lo_u32 v1, v0, s22
	s_add_nc_u64 s[14:15], s[10:11], s[26:27]
	v_sub_nc_u32_e32 v2, s34, v0
	s_add_nc_u64 s[14:15], s[8:9], s[14:15]
	s_add_nc_u64 s[8:9], s[8:9], s[10:11]
	v_add_co_u32 v12, s1, s14, v3
	s_lshl_b32 s25, s22, 2
	v_add_co_ci_u32_e64 v13, null, s15, 0, s1
	v_add_co_u32 v14, s1, s8, v3
	v_cmp_gt_u32_e64 s0, s22, v0
	v_add_lshl_u32 v4, v1, v0, 2
	v_lshlrev_b32_e32 v5, 2, v2
	v_add_nc_u32_e32 v11, s25, v3
	s_wait_alu 0xf1ff
	v_add_co_ci_u32_e64 v15, null, s9, 0, s1
	s_lshl_b64 s[6:7], s[28:29], 2
	s_lshl_b64 s[8:9], s[30:31], 2
	;; [unrolled: 1-line block ×3, first 2 shown]
	s_wait_alu 0xfffe
	s_sub_nc_u64 s[18:19], 0, s[6:7]
	s_add_co_i32 s16, s25, 4
	s_lshl_b64 s[10:11], s[12:13], 2
	s_sub_nc_u64 s[12:13], 0, s[8:9]
	s_branch .LBB3_4
.LBB3_2:                                ;   in Loop: Header=BB3_4 Depth=1
	s_wait_alu 0xfffe
	s_or_b32 exec_lo, exec_lo, s17
.LBB3_3:                                ;   in Loop: Header=BB3_4 Depth=1
	s_add_co_i32 s2, s2, 0x10000
	s_delay_alu instid0(SALU_CYCLE_1)
	s_cmp_lt_u32 s2, s23
	s_cbranch_scc0 .LBB3_38
.LBB3_4:                                ; =>This Loop Header: Depth=1
                                        ;     Child Loop BB3_8 Depth 2
                                        ;     Child Loop BB3_12 Depth 2
	;; [unrolled: 1-line block ×3, first 2 shown]
                                        ;       Child Loop BB3_26 Depth 3
                                        ;     Child Loop BB3_33 Depth 2
                                        ;     Child Loop BB3_37 Depth 2
	s_and_not1_b32 vcc_lo, exec_lo, s24
	s_wait_alu 0xfffe
	s_cbranch_vccnz .LBB3_3
; %bb.5:                                ;   in Loop: Header=BB3_4 Depth=1
	s_and_saveexec_b32 s17, s0
	s_cbranch_execz .LBB3_13
; %bb.6:                                ;   in Loop: Header=BB3_4 Depth=1
	s_mul_u64 s[14:15], s[4:5], s[2:3]
	s_and_not1_b32 vcc_lo, exec_lo, s20
	s_mov_b32 s1, -1
	s_wait_alu 0xfffe
	s_cbranch_vccnz .LBB3_10
; %bb.7:                                ;   in Loop: Header=BB3_4 Depth=1
	v_add_co_u32 v1, vcc_lo, v6, s14
	s_wait_alu 0xfffd
	v_add_co_ci_u32_e64 v2, null, s15, v7, vcc_lo
	v_mov_b32_e32 v16, v5
	s_mov_b32 s26, 0
	s_mov_b32 s27, s22
.LBB3_8:                                ;   Parent Loop BB3_4 Depth=1
                                        ; =>  This Inner Loop Header: Depth=2
	global_load_b32 v17, v[1:2], off
	s_wait_alu 0xfffe
	s_add_co_i32 s27, s27, -1
	v_add_co_u32 v1, vcc_lo, v1, s18
	s_wait_alu 0xfffe
	v_cmp_le_u32_e64 s1, s27, v0
	s_wait_alu 0xfffd
	v_add_co_ci_u32_e64 v2, null, s19, v2, vcc_lo
	s_or_b32 s26, s1, s26
	s_wait_loadcnt 0x0
	ds_store_b32 v16, v17
	v_add_nc_u32_e32 v16, s25, v16
	s_wait_alu 0xfffe
	s_and_not1_b32 exec_lo, exec_lo, s26
	s_cbranch_execnz .LBB3_8
; %bb.9:                                ;   in Loop: Header=BB3_4 Depth=1
	s_or_b32 exec_lo, exec_lo, s26
	s_mov_b32 s1, 0
.LBB3_10:                               ;   in Loop: Header=BB3_4 Depth=1
	s_wait_alu 0xfffe
	s_and_b32 vcc_lo, exec_lo, s1
	s_wait_alu 0xfffe
	s_cbranch_vccz .LBB3_13
; %bb.11:                               ;   in Loop: Header=BB3_4 Depth=1
	v_add_co_u32 v1, vcc_lo, v9, s14
	s_wait_alu 0xfffd
	v_add_co_ci_u32_e64 v2, null, s15, v10, vcc_lo
	v_dual_mov_b32 v16, v3 :: v_dual_mov_b32 v17, v8
	s_mov_b32 s14, 0
.LBB3_12:                               ;   Parent Loop BB3_4 Depth=1
                                        ; =>  This Inner Loop Header: Depth=2
	global_load_b32 v18, v[1:2], off
	v_add_nc_u32_e32 v17, -1, v17
	v_add_co_u32 v1, vcc_lo, v1, s6
	s_wait_alu 0xfffd
	v_add_co_ci_u32_e64 v2, null, s7, v2, vcc_lo
	s_delay_alu instid0(VALU_DEP_3)
	v_cmp_eq_u32_e64 s1, 0, v17
	s_wait_alu 0xfffe
	s_or_b32 s14, s1, s14
	s_wait_loadcnt 0x0
	ds_store_b32 v16, v18
	v_add_nc_u32_e32 v16, s25, v16
	s_wait_alu 0xfffe
	s_and_not1_b32 exec_lo, exec_lo, s14
	s_cbranch_execnz .LBB3_12
.LBB3_13:                               ;   in Loop: Header=BB3_4 Depth=1
	s_wait_alu 0xfffe
	s_or_b32 exec_lo, exec_lo, s17
	s_wait_dscnt 0x0
	s_barrier_signal -1
	s_barrier_wait -1
	global_inv scope:SCOPE_SE
	s_and_saveexec_b32 s1, s0
	s_cbranch_execz .LBB3_19
; %bb.14:                               ;   in Loop: Header=BB3_4 Depth=1
	v_mov_b32_e32 v2, 1.0
	s_and_not1_b32 vcc_lo, exec_lo, s21
	s_wait_alu 0xfffe
	s_cbranch_vccnz .LBB3_18
; %bb.15:                               ;   in Loop: Header=BB3_4 Depth=1
	ds_load_b32 v1, v4
	v_mov_b32_e32 v2, 1.0
	s_mov_b32 s14, exec_lo
	s_wait_dscnt 0x0
	v_cmpx_neq_f32_e32 0, v1
	s_cbranch_execz .LBB3_17
; %bb.16:                               ;   in Loop: Header=BB3_4 Depth=1
	v_div_scale_f32 v2, null, v1, v1, 1.0
	s_delay_alu instid0(VALU_DEP_1) | instskip(NEXT) | instid1(TRANS32_DEP_1)
	v_rcp_f32_e32 v16, v2
	v_fma_f32 v17, -v2, v16, 1.0
	s_delay_alu instid0(VALU_DEP_1) | instskip(SKIP_1) | instid1(VALU_DEP_1)
	v_fmac_f32_e32 v16, v17, v16
	v_div_scale_f32 v17, vcc_lo, 1.0, v1, 1.0
	v_mul_f32_e32 v18, v17, v16
	s_delay_alu instid0(VALU_DEP_1) | instskip(NEXT) | instid1(VALU_DEP_1)
	v_fma_f32 v19, -v2, v18, v17
	v_fmac_f32_e32 v18, v19, v16
	s_delay_alu instid0(VALU_DEP_1) | instskip(SKIP_1) | instid1(VALU_DEP_1)
	v_fma_f32 v2, -v2, v18, v17
	s_wait_alu 0xfffd
	v_div_fmas_f32 v2, v2, v16, v18
	s_delay_alu instid0(VALU_DEP_1)
	v_div_fixup_f32 v2, v2, v1, 1.0
.LBB3_17:                               ;   in Loop: Header=BB3_4 Depth=1
	s_wait_alu 0xfffe
	s_or_b32 exec_lo, exec_lo, s14
.LBB3_18:                               ;   in Loop: Header=BB3_4 Depth=1
	ds_store_b32 v4, v2
.LBB3_19:                               ;   in Loop: Header=BB3_4 Depth=1
	s_wait_alu 0xfffe
	s_or_b32 exec_lo, exec_lo, s1
	v_mov_b32_e32 v1, v11
	s_mov_b32 s1, 0
	s_mov_b32 s14, 4
	s_wait_loadcnt_dscnt 0x0
	s_barrier_signal -1
	s_barrier_wait -1
	global_inv scope:SCOPE_SE
	s_branch .LBB3_21
.LBB3_20:                               ;   in Loop: Header=BB3_21 Depth=2
	v_add_nc_u32_e32 v1, s25, v1
	s_add_co_i32 s14, s14, s16
	s_cmp_eq_u32 s1, s22
	s_wait_loadcnt 0x0
	s_barrier_signal -1
	s_barrier_wait -1
	global_inv scope:SCOPE_SE
	s_cbranch_scc1 .LBB3_30
.LBB3_21:                               ;   Parent Loop BB3_4 Depth=1
                                        ; =>  This Loop Header: Depth=2
                                        ;       Child Loop BB3_26 Depth 3
	v_mov_b32_e32 v2, 0
	s_wait_alu 0xfffe
	s_mul_i32 s15, s1, s22
	s_mov_b32 s17, exec_lo
	v_cmpx_lt_u32_e64 s1, v0
	s_cbranch_execz .LBB3_23
; %bb.22:                               ;   in Loop: Header=BB3_21 Depth=2
	s_lshl_b32 s26, s1, 2
	s_wait_alu 0xfffe
	s_lshl_b32 s27, s15, 2
	s_wait_alu 0xfffe
	s_add_co_i32 s26, s26, s27
	v_add_nc_u32_e32 v2, s27, v3
	s_wait_alu 0xfffe
	v_mov_b32_e32 v16, s26
	ds_load_b32 v2, v2
	ds_load_b32 v16, v16
	s_wait_dscnt 0x0
	v_fma_f32 v2, v2, v16, 0
.LBB3_23:                               ;   in Loop: Header=BB3_21 Depth=2
	s_wait_alu 0xfffe
	s_or_b32 exec_lo, exec_lo, s17
	s_add_co_i32 s1, s1, 1
	s_wait_loadcnt 0x0
	s_wait_alu 0xfffe
	s_cmp_ge_i32 s1, s22
	s_barrier_signal -1
	s_barrier_wait -1
	global_inv scope:SCOPE_SE
	s_cbranch_scc1 .LBB3_20
; %bb.24:                               ;   in Loop: Header=BB3_21 Depth=2
	v_lshl_add_u32 v16, s15, 2, v3
	v_mov_b32_e32 v17, v1
	s_mov_b32 s15, s14
	s_mov_b32 s17, s1
	s_branch .LBB3_26
.LBB3_25:                               ;   in Loop: Header=BB3_26 Depth=3
	s_wait_alu 0xfffe
	s_or_b32 exec_lo, exec_lo, s26
	v_add_nc_u32_e32 v17, s25, v17
	s_add_co_i32 s17, s17, 1
	s_add_co_i32 s15, s15, 4
	s_wait_alu 0xfffe
	s_cmp_eq_u32 s22, s17
	s_wait_loadcnt 0x0
	s_barrier_signal -1
	s_barrier_wait -1
	global_inv scope:SCOPE_SE
	s_cbranch_scc1 .LBB3_20
.LBB3_26:                               ;   Parent Loop BB3_4 Depth=1
                                        ;     Parent Loop BB3_21 Depth=2
                                        ; =>    This Inner Loop Header: Depth=3
	s_mov_b32 s26, exec_lo
	s_wait_alu 0xfffe
	v_cmpx_eq_u32_e64 s17, v0
	s_cbranch_execz .LBB3_28
; %bb.27:                               ;   in Loop: Header=BB3_26 Depth=3
	ds_load_b32 v18, v4
	s_wait_dscnt 0x0
	v_mul_f32_e64 v18, -v2, v18
	ds_store_b32 v16, v18
.LBB3_28:                               ;   in Loop: Header=BB3_26 Depth=3
	s_or_b32 exec_lo, exec_lo, s26
	s_delay_alu instid0(SALU_CYCLE_1)
	s_mov_b32 s26, exec_lo
	s_wait_loadcnt_dscnt 0x0
	s_barrier_signal -1
	s_barrier_wait -1
	global_inv scope:SCOPE_SE
	v_cmpx_lt_u32_e64 s17, v0
	s_cbranch_execz .LBB3_25
; %bb.29:                               ;   in Loop: Header=BB3_26 Depth=3
	v_mov_b32_e32 v18, s15
	ds_load_b32 v19, v17
	ds_load_b32 v18, v18
	s_wait_dscnt 0x0
	v_fmac_f32_e32 v2, v19, v18
	s_branch .LBB3_25
.LBB3_30:                               ;   in Loop: Header=BB3_4 Depth=1
	s_and_saveexec_b32 s17, s0
	s_cbranch_execz .LBB3_2
; %bb.31:                               ;   in Loop: Header=BB3_4 Depth=1
	s_mul_u64 s[14:15], s[10:11], s[2:3]
	s_and_not1_b32 vcc_lo, exec_lo, s20
	s_mov_b32 s1, -1
	s_wait_alu 0xfffe
	s_cbranch_vccnz .LBB3_35
; %bb.32:                               ;   in Loop: Header=BB3_4 Depth=1
	v_add_co_u32 v1, vcc_lo, v12, s14
	s_wait_alu 0xfffd
	v_add_co_ci_u32_e64 v2, null, s15, v13, vcc_lo
	v_mov_b32_e32 v16, v5
	s_mov_b32 s26, 0
	s_mov_b32 s27, s22
.LBB3_33:                               ;   Parent Loop BB3_4 Depth=1
                                        ; =>  This Inner Loop Header: Depth=2
	ds_load_b32 v17, v16
	s_wait_alu 0xfffe
	s_add_co_i32 s27, s27, -1
	v_add_nc_u32_e32 v16, s25, v16
	s_wait_alu 0xfffe
	v_cmp_le_u32_e32 vcc_lo, s27, v0
	s_or_b32 s26, vcc_lo, s26
	s_wait_dscnt 0x0
	global_store_b32 v[1:2], v17, off
	v_add_co_u32 v1, s1, v1, s12
	s_wait_alu 0xf1ff
	v_add_co_ci_u32_e64 v2, null, s13, v2, s1
	s_wait_alu 0xfffe
	s_and_not1_b32 exec_lo, exec_lo, s26
	s_cbranch_execnz .LBB3_33
; %bb.34:                               ;   in Loop: Header=BB3_4 Depth=1
	s_or_b32 exec_lo, exec_lo, s26
	s_mov_b32 s1, 0
.LBB3_35:                               ;   in Loop: Header=BB3_4 Depth=1
	s_wait_alu 0xfffe
	s_and_b32 vcc_lo, exec_lo, s1
	s_wait_alu 0xfffe
	s_cbranch_vccz .LBB3_2
; %bb.36:                               ;   in Loop: Header=BB3_4 Depth=1
	v_add_co_u32 v1, vcc_lo, v14, s14
	s_wait_alu 0xfffd
	v_add_co_ci_u32_e64 v2, null, s15, v15, vcc_lo
	v_dual_mov_b32 v16, v3 :: v_dual_mov_b32 v17, v8
	s_mov_b32 s14, 0
.LBB3_37:                               ;   Parent Loop BB3_4 Depth=1
                                        ; =>  This Inner Loop Header: Depth=2
	ds_load_b32 v18, v16
	v_add_nc_u32_e32 v17, -1, v17
	v_add_nc_u32_e32 v16, s25, v16
	s_delay_alu instid0(VALU_DEP_2)
	v_cmp_eq_u32_e32 vcc_lo, 0, v17
	s_wait_alu 0xfffe
	s_or_b32 s14, vcc_lo, s14
	s_wait_dscnt 0x0
	global_store_b32 v[1:2], v18, off
	v_add_co_u32 v1, s1, v1, s8
	s_wait_alu 0xf1ff
	v_add_co_ci_u32_e64 v2, null, s9, v2, s1
	s_wait_alu 0xfffe
	s_and_not1_b32 exec_lo, exec_lo, s14
	s_cbranch_execnz .LBB3_37
	s_branch .LBB3_2
.LBB3_38:
	s_endpgm
	.section	.rodata,"a",@progbits
	.p2align	6, 0x0
	.amdhsa_kernel _ZL30rocblas_trtri_remainder_kernelILi16EfPKfPfEv13rocblas_fill_17rocblas_diagonal_iT1_lillT2_lilli
		.amdhsa_group_segment_fixed_size 4096
		.amdhsa_private_segment_fixed_size 0
		.amdhsa_kernarg_size 100
		.amdhsa_user_sgpr_count 2
		.amdhsa_user_sgpr_dispatch_ptr 0
		.amdhsa_user_sgpr_queue_ptr 0
		.amdhsa_user_sgpr_kernarg_segment_ptr 1
		.amdhsa_user_sgpr_dispatch_id 0
		.amdhsa_user_sgpr_private_segment_size 0
		.amdhsa_wavefront_size32 1
		.amdhsa_uses_dynamic_stack 0
		.amdhsa_enable_private_segment 0
		.amdhsa_system_sgpr_workgroup_id_x 1
		.amdhsa_system_sgpr_workgroup_id_y 0
		.amdhsa_system_sgpr_workgroup_id_z 1
		.amdhsa_system_sgpr_workgroup_info 0
		.amdhsa_system_vgpr_workitem_id 0
		.amdhsa_next_free_vgpr 20
		.amdhsa_next_free_sgpr 40
		.amdhsa_reserve_vcc 1
		.amdhsa_float_round_mode_32 0
		.amdhsa_float_round_mode_16_64 0
		.amdhsa_float_denorm_mode_32 3
		.amdhsa_float_denorm_mode_16_64 3
		.amdhsa_fp16_overflow 0
		.amdhsa_workgroup_processor_mode 1
		.amdhsa_memory_ordered 1
		.amdhsa_forward_progress 1
		.amdhsa_inst_pref_size 13
		.amdhsa_round_robin_scheduling 0
		.amdhsa_exception_fp_ieee_invalid_op 0
		.amdhsa_exception_fp_denorm_src 0
		.amdhsa_exception_fp_ieee_div_zero 0
		.amdhsa_exception_fp_ieee_overflow 0
		.amdhsa_exception_fp_ieee_underflow 0
		.amdhsa_exception_fp_ieee_inexact 0
		.amdhsa_exception_int_div_zero 0
	.end_amdhsa_kernel
	.section	.text._ZL30rocblas_trtri_remainder_kernelILi16EfPKfPfEv13rocblas_fill_17rocblas_diagonal_iT1_lillT2_lilli,"axG",@progbits,_ZL30rocblas_trtri_remainder_kernelILi16EfPKfPfEv13rocblas_fill_17rocblas_diagonal_iT1_lillT2_lilli,comdat
.Lfunc_end3:
	.size	_ZL30rocblas_trtri_remainder_kernelILi16EfPKfPfEv13rocblas_fill_17rocblas_diagonal_iT1_lillT2_lilli, .Lfunc_end3-_ZL30rocblas_trtri_remainder_kernelILi16EfPKfPfEv13rocblas_fill_17rocblas_diagonal_iT1_lillT2_lilli
                                        ; -- End function
	.set _ZL30rocblas_trtri_remainder_kernelILi16EfPKfPfEv13rocblas_fill_17rocblas_diagonal_iT1_lillT2_lilli.num_vgpr, 20
	.set _ZL30rocblas_trtri_remainder_kernelILi16EfPKfPfEv13rocblas_fill_17rocblas_diagonal_iT1_lillT2_lilli.num_agpr, 0
	.set _ZL30rocblas_trtri_remainder_kernelILi16EfPKfPfEv13rocblas_fill_17rocblas_diagonal_iT1_lillT2_lilli.numbered_sgpr, 40
	.set _ZL30rocblas_trtri_remainder_kernelILi16EfPKfPfEv13rocblas_fill_17rocblas_diagonal_iT1_lillT2_lilli.num_named_barrier, 0
	.set _ZL30rocblas_trtri_remainder_kernelILi16EfPKfPfEv13rocblas_fill_17rocblas_diagonal_iT1_lillT2_lilli.private_seg_size, 0
	.set _ZL30rocblas_trtri_remainder_kernelILi16EfPKfPfEv13rocblas_fill_17rocblas_diagonal_iT1_lillT2_lilli.uses_vcc, 1
	.set _ZL30rocblas_trtri_remainder_kernelILi16EfPKfPfEv13rocblas_fill_17rocblas_diagonal_iT1_lillT2_lilli.uses_flat_scratch, 0
	.set _ZL30rocblas_trtri_remainder_kernelILi16EfPKfPfEv13rocblas_fill_17rocblas_diagonal_iT1_lillT2_lilli.has_dyn_sized_stack, 0
	.set _ZL30rocblas_trtri_remainder_kernelILi16EfPKfPfEv13rocblas_fill_17rocblas_diagonal_iT1_lillT2_lilli.has_recursion, 0
	.set _ZL30rocblas_trtri_remainder_kernelILi16EfPKfPfEv13rocblas_fill_17rocblas_diagonal_iT1_lillT2_lilli.has_indirect_call, 0
	.section	.AMDGPU.csdata,"",@progbits
; Kernel info:
; codeLenInByte = 1612
; TotalNumSgprs: 42
; NumVgprs: 20
; ScratchSize: 0
; MemoryBound: 0
; FloatMode: 240
; IeeeMode: 1
; LDSByteSize: 4096 bytes/workgroup (compile time only)
; SGPRBlocks: 0
; VGPRBlocks: 2
; NumSGPRsForWavesPerEU: 42
; NumVGPRsForWavesPerEU: 20
; Occupancy: 16
; WaveLimiterHint : 0
; COMPUTE_PGM_RSRC2:SCRATCH_EN: 0
; COMPUTE_PGM_RSRC2:USER_SGPR: 2
; COMPUTE_PGM_RSRC2:TRAP_HANDLER: 0
; COMPUTE_PGM_RSRC2:TGID_X_EN: 1
; COMPUTE_PGM_RSRC2:TGID_Y_EN: 0
; COMPUTE_PGM_RSRC2:TGID_Z_EN: 1
; COMPUTE_PGM_RSRC2:TIDIG_COMP_CNT: 0
	.section	.text._ZL18rocblas_trtri_fillILi128EdPdEvP15_rocblas_handle13rocblas_fill_ililT1_llii,"axG",@progbits,_ZL18rocblas_trtri_fillILi128EdPdEvP15_rocblas_handle13rocblas_fill_ililT1_llii,comdat
	.globl	_ZL18rocblas_trtri_fillILi128EdPdEvP15_rocblas_handle13rocblas_fill_ililT1_llii ; -- Begin function _ZL18rocblas_trtri_fillILi128EdPdEvP15_rocblas_handle13rocblas_fill_ililT1_llii
	.p2align	8
	.type	_ZL18rocblas_trtri_fillILi128EdPdEvP15_rocblas_handle13rocblas_fill_ililT1_llii,@function
_ZL18rocblas_trtri_fillILi128EdPdEvP15_rocblas_handle13rocblas_fill_ililT1_llii: ; @_ZL18rocblas_trtri_fillILi128EdPdEvP15_rocblas_handle13rocblas_fill_ililT1_llii
; %bb.0:
	s_load_b64 s[2:3], s[0:1], 0x40
	s_lshr_b32 s16, ttmp7, 16
	s_wait_kmcnt 0x0
	s_cmp_ge_u32 s16, s3
	s_cbranch_scc1 .LBB4_17
; %bb.1:
	s_clause 0x2
	s_load_b128 s[12:15], s[0:1], 0x8
	s_load_b32 s20, s[0:1], 0x18
	s_load_b256 s[4:11], s[0:1], 0x20
	s_ashr_i32 s23, s2, 31
	s_mov_b32 s22, s2
	s_mov_b32 s18, ttmp9
	s_add_nc_u64 s[30:31], s[0:1], 0x48
	s_wait_kmcnt 0x0
	v_cvt_f32_u32_e32 v1, s14
	s_add_co_i32 s17, s13, -2
	s_cvt_f32_u32 s19, s15
	s_lshl_b64 s[26:27], s[8:9], 3
	s_sub_co_i32 s8, 0, s14
	v_rcp_iflag_f32_e32 v3, v1
	v_cvt_f64_i32_e32 v[1:2], s17
	s_cvt_f32_u32 s17, s14
	s_ashr_i32 s9, s13, 31
	s_add_co_i32 s28, s13, -1
	s_mul_u64 s[22:23], s[14:15], s[22:23]
	s_wait_alu 0xfffe
	s_fmamk_f32 s2, s19, 0x4f800000, s17
	s_mov_b32 s19, 0
	s_ashr_i32 s29, s28, 31
	s_lshl_b64 s[24:25], s[18:19], 7
	v_mul_f32_e32 v4, 0x4f7ffffe, v3
	v_s_rcp_f32 s2, s2
	v_or_b32_e32 v3, s24, v0
	s_add_nc_u64 s[6:7], s[6:7], s[26:27]
	s_ashr_i32 s21, s20, 31
	v_cvt_u32_f32_e32 v0, v4
	v_mov_b32_e32 v4, s25
	s_sub_nc_u64 s[34:35], 0, s[14:15]
	s_mul_f32 s17, s2, 0x5f7ffffc
	s_delay_alu instid0(VALU_DEP_2) | instskip(SKIP_4) | instid1(SALU_CYCLE_1)
	v_mul_lo_u32 v5, s8, v0
	s_mov_b32 s8, s13
	s_wait_alu 0xfffe
	s_mul_f32 s2, s17, 0x2f800000
	s_mul_u64 s[28:29], s[28:29], s[8:9]
	s_lshl_b64 s[24:25], s[28:29], 2
	s_wait_alu 0xfffe
	s_trunc_f32 s13, s2
	v_cmp_gt_u64_e64 s2, s[22:23], v[3:4]
	v_mul_hi_u32 v6, v0, v5
	v_mov_b32_e32 v5, 0
	s_fmamk_f32 s17, s13, 0xcf800000, s17
	s_lshr_b64 s[26:27], s[28:29], 1
	s_cvt_u32_f32 s29, s13
	s_add_nc_u64 s[24:25], s[24:25], -7
	s_wait_alu 0xfffe
	s_cvt_u32_f32 s28, s17
	v_add_nc_u32_e32 v0, v0, v6
	s_branch .LBB4_3
.LBB4_2:                                ;   in Loop: Header=BB4_3 Depth=1
	s_wait_alu 0xfffe
	s_or_b32 exec_lo, exec_lo, s1
	s_add_co_i32 s16, s16, 0x10000
	s_wait_alu 0xfffe
	s_cmp_lt_u32 s16, s3
	s_cbranch_scc0 .LBB4_17
.LBB4_3:                                ; =>This Loop Header: Depth=1
                                        ;     Child Loop BB4_6 Depth 2
	s_and_saveexec_b32 s1, s2
	s_cbranch_execz .LBB4_2
; %bb.4:                                ;   in Loop: Header=BB4_3 Depth=1
	s_clause 0x1
	s_load_b32 s0, s[30:31], 0xc
	s_load_b32 s18, s[30:31], 0x0
	s_mov_b32 s17, s19
	v_dual_mov_b32 v8, v4 :: v_dual_mov_b32 v7, v3
	s_wait_alu 0xfffe
	s_mul_u64 s[38:39], s[10:11], s[16:17]
	s_mov_b32 s37, s19
	s_wait_alu 0xfffe
	s_lshl_b64 s[38:39], s[38:39], 3
	s_mov_b32 s13, 0
	s_wait_alu 0xfffe
	s_add_nc_u64 s[38:39], s[6:7], s[38:39]
	s_wait_kmcnt 0x0
	s_and_b32 s36, s0, 0xffff
	s_wait_alu 0xfffe
	s_mul_u64 s[36:37], s[36:37], s[18:19]
	s_branch .LBB4_6
.LBB4_5:                                ;   in Loop: Header=BB4_6 Depth=2
	v_add_co_u32 v7, vcc_lo, v7, s36
	s_wait_alu 0xfffd
	v_add_co_ci_u32_e64 v8, null, s37, v8, vcc_lo
	s_delay_alu instid0(VALU_DEP_1) | instskip(SKIP_1) | instid1(SALU_CYCLE_1)
	v_cmp_le_u64_e32 vcc_lo, s[22:23], v[7:8]
	s_or_b32 s13, vcc_lo, s13
	s_and_not1_b32 exec_lo, exec_lo, s13
	s_cbranch_execz .LBB4_2
.LBB4_6:                                ;   Parent Loop BB4_3 Depth=1
                                        ; =>  This Inner Loop Header: Depth=2
	v_or_b32_e32 v6, s15, v8
                                        ; implicit-def: $vgpr9_vgpr10
	s_mov_b32 s0, exec_lo
	s_delay_alu instid0(VALU_DEP_1)
	v_cmpx_ne_u64_e32 0, v[5:6]
	s_wait_alu 0xfffe
	s_xor_b32 s17, exec_lo, s0
	s_cbranch_execz .LBB4_8
; %bb.7:                                ;   in Loop: Header=BB4_6 Depth=2
	s_mul_u64 s[40:41], s[34:35], s[28:29]
	s_delay_alu instid0(SALU_CYCLE_1)
	s_mul_hi_u32 s43, s28, s41
	s_mul_i32 s42, s28, s41
	s_mul_hi_u32 s18, s28, s40
	s_mul_hi_u32 s0, s29, s40
	s_wait_alu 0xfffe
	s_add_nc_u64 s[42:43], s[18:19], s[42:43]
	s_mul_i32 s18, s29, s40
	s_mul_hi_u32 s33, s29, s41
	s_wait_alu 0xfffe
	s_add_co_u32 s18, s42, s18
	s_add_co_ci_u32 s18, s43, s0
	s_add_co_ci_u32 s43, s33, 0
	s_mul_i32 s42, s29, s41
	s_wait_alu 0xfffe
	s_add_nc_u64 s[40:41], s[18:19], s[42:43]
	s_delay_alu instid0(SALU_CYCLE_1) | instskip(SKIP_4) | instid1(SALU_CYCLE_1)
	s_add_co_u32 s40, s28, s40
	s_cselect_b32 s0, -1, 0
	s_wait_alu 0xfffe
	s_cmp_lg_u32 s0, 0
	s_add_co_ci_u32 s41, s29, s41
	s_mul_u64 s[42:43], s[34:35], s[40:41]
	s_delay_alu instid0(SALU_CYCLE_1)
	s_mul_hi_u32 s45, s40, s43
	s_mul_i32 s44, s40, s43
	s_mul_hi_u32 s18, s40, s42
	s_mul_i32 s33, s41, s42
	s_wait_alu 0xfffe
	s_add_nc_u64 s[44:45], s[18:19], s[44:45]
	s_mul_hi_u32 s0, s41, s42
	s_mul_hi_u32 s46, s41, s43
	s_add_co_u32 s18, s44, s33
	s_wait_alu 0xfffe
	s_add_co_ci_u32 s18, s45, s0
	s_mul_i32 s42, s41, s43
	s_add_co_ci_u32 s43, s46, 0
	s_wait_alu 0xfffe
	s_add_nc_u64 s[42:43], s[18:19], s[42:43]
	s_delay_alu instid0(SALU_CYCLE_1)
	s_add_co_u32 s0, s40, s42
	s_cselect_b32 s18, -1, 0
	s_wait_alu 0xfffe
	v_mul_hi_u32 v6, v7, s0
	s_cmp_lg_u32 s18, 0
	v_mad_co_u64_u32 v[11:12], null, v8, s0, 0
	s_add_co_ci_u32 s18, s41, s43
	s_wait_alu 0xfffe
	v_mad_co_u64_u32 v[9:10], null, v7, s18, 0
	v_mad_co_u64_u32 v[13:14], null, v8, s18, 0
	s_delay_alu instid0(VALU_DEP_2) | instskip(SKIP_1) | instid1(VALU_DEP_3)
	v_add_co_u32 v6, vcc_lo, v6, v9
	s_wait_alu 0xfffd
	v_add_co_ci_u32_e64 v9, null, 0, v10, vcc_lo
	s_delay_alu instid0(VALU_DEP_2) | instskip(SKIP_1) | instid1(VALU_DEP_2)
	v_add_co_u32 v6, vcc_lo, v6, v11
	s_wait_alu 0xfffd
	v_add_co_ci_u32_e32 v6, vcc_lo, v9, v12, vcc_lo
	s_wait_alu 0xfffd
	v_add_co_ci_u32_e32 v9, vcc_lo, 0, v14, vcc_lo
	s_delay_alu instid0(VALU_DEP_2) | instskip(SKIP_1) | instid1(VALU_DEP_2)
	v_add_co_u32 v6, vcc_lo, v6, v13
	s_wait_alu 0xfffd
	v_add_co_ci_u32_e64 v11, null, 0, v9, vcc_lo
	s_delay_alu instid0(VALU_DEP_2) | instskip(SKIP_1) | instid1(VALU_DEP_3)
	v_mul_lo_u32 v12, s15, v6
	v_mad_co_u64_u32 v[9:10], null, s14, v6, 0
	v_mul_lo_u32 v13, s14, v11
	s_delay_alu instid0(VALU_DEP_2) | instskip(NEXT) | instid1(VALU_DEP_2)
	v_sub_co_u32 v9, vcc_lo, v7, v9
	v_add3_u32 v10, v10, v13, v12
	v_add_co_u32 v13, s0, v6, 2
	s_wait_alu 0xf1ff
	v_add_co_ci_u32_e64 v14, null, 0, v11, s0
	s_delay_alu instid0(VALU_DEP_3) | instskip(SKIP_3) | instid1(VALU_DEP_3)
	v_sub_nc_u32_e32 v12, v8, v10
	v_sub_co_u32 v15, s0, v9, s14
	s_wait_alu 0xfffd
	v_sub_co_ci_u32_e64 v10, null, v8, v10, vcc_lo
	v_subrev_co_ci_u32_e64 v12, null, s15, v12, vcc_lo
	s_delay_alu instid0(VALU_DEP_3) | instskip(SKIP_1) | instid1(VALU_DEP_2)
	v_cmp_le_u32_e32 vcc_lo, s14, v15
	s_wait_alu 0xf1ff
	v_subrev_co_ci_u32_e64 v12, null, 0, v12, s0
	s_wait_alu 0xfffd
	v_cndmask_b32_e64 v15, 0, -1, vcc_lo
	v_cmp_eq_u32_e64 s0, s15, v10
	s_delay_alu instid0(VALU_DEP_3)
	v_cmp_le_u32_e32 vcc_lo, s15, v12
	s_wait_alu 0xfffd
	v_cndmask_b32_e64 v16, 0, -1, vcc_lo
	v_cmp_le_u32_e32 vcc_lo, s14, v9
	s_wait_alu 0xfffd
	v_cndmask_b32_e64 v9, 0, -1, vcc_lo
	;; [unrolled: 3-line block ×3, first 2 shown]
	v_cmp_eq_u32_e32 vcc_lo, s15, v12
	s_wait_alu 0xf1ff
	s_delay_alu instid0(VALU_DEP_2)
	v_cndmask_b32_e64 v9, v17, v9, s0
	s_wait_alu 0xfffd
	v_cndmask_b32_e32 v12, v16, v15, vcc_lo
	v_add_co_u32 v15, vcc_lo, v6, 1
	s_wait_alu 0xfffd
	v_add_co_ci_u32_e64 v16, null, 0, v11, vcc_lo
	s_delay_alu instid0(VALU_DEP_3) | instskip(SKIP_2) | instid1(VALU_DEP_3)
	v_cmp_ne_u32_e32 vcc_lo, 0, v12
	s_wait_alu 0xfffd
	v_cndmask_b32_e32 v12, v15, v13, vcc_lo
	v_cndmask_b32_e32 v10, v16, v14, vcc_lo
	v_cmp_ne_u32_e32 vcc_lo, 0, v9
	s_wait_alu 0xfffd
	s_delay_alu instid0(VALU_DEP_2)
	v_dual_cndmask_b32 v9, v6, v12 :: v_dual_cndmask_b32 v10, v11, v10
.LBB4_8:                                ;   in Loop: Header=BB4_6 Depth=2
	s_wait_alu 0xfffe
	s_and_not1_saveexec_b32 s0, s17
	s_cbranch_execz .LBB4_10
; %bb.9:                                ;   in Loop: Header=BB4_6 Depth=2
	v_mul_hi_u32 v6, v7, v0
	s_delay_alu instid0(VALU_DEP_1) | instskip(NEXT) | instid1(VALU_DEP_1)
	v_mul_lo_u32 v9, v6, s14
	v_sub_nc_u32_e32 v9, v7, v9
	s_delay_alu instid0(VALU_DEP_1) | instskip(SKIP_2) | instid1(VALU_DEP_2)
	v_subrev_nc_u32_e32 v11, s14, v9
	v_cmp_le_u32_e32 vcc_lo, s14, v9
	s_wait_alu 0xfffd
	v_dual_cndmask_b32 v9, v9, v11 :: v_dual_add_nc_u32 v10, 1, v6
	s_delay_alu instid0(VALU_DEP_1) | instskip(NEXT) | instid1(VALU_DEP_2)
	v_cndmask_b32_e32 v6, v6, v10, vcc_lo
	v_cmp_le_u32_e32 vcc_lo, s14, v9
	s_delay_alu instid0(VALU_DEP_2) | instskip(SKIP_1) | instid1(VALU_DEP_1)
	v_add_nc_u32_e32 v10, 1, v6
	s_wait_alu 0xfffd
	v_dual_cndmask_b32 v9, v6, v10 :: v_dual_mov_b32 v10, v5
.LBB4_10:                               ;   in Loop: Header=BB4_6 Depth=2
	s_wait_alu 0xfffe
	s_or_b32 exec_lo, exec_lo, s0
	s_delay_alu instid0(VALU_DEP_1) | instskip(NEXT) | instid1(VALU_DEP_2)
	v_mul_lo_u32 v6, v10, s14
	v_mul_lo_u32 v13, v9, s15
	v_mad_co_u64_u32 v[11:12], null, v9, s14, 0
	s_cmp_lt_i32 s12, 0x7a
	s_mov_b32 s0, -1
	v_add3_u32 v6, v12, v13, v6
	v_sub_co_u32 v11, vcc_lo, v7, v11
	s_wait_alu 0xfffd
	s_delay_alu instid0(VALU_DEP_2)
	v_sub_co_ci_u32_e64 v12, null, v8, v6, vcc_lo
	s_cbranch_scc1 .LBB4_14
; %bb.11:                               ;   in Loop: Header=BB4_6 Depth=2
	s_cmp_eq_u32 s12, 0x7a
	s_cbranch_scc0 .LBB4_13
; %bb.12:                               ;   in Loop: Header=BB4_6 Depth=2
	v_lshlrev_b64_e32 v[13:14], 3, v[11:12]
	s_delay_alu instid0(VALU_DEP_1) | instskip(SKIP_1) | instid1(VALU_DEP_2)
	v_sub_co_u32 v6, vcc_lo, s24, v13
	s_wait_alu 0xfffd
	v_sub_co_ci_u32_e64 v13, null, s25, v14, vcc_lo
	s_delay_alu instid0(VALU_DEP_2) | instskip(NEXT) | instid1(VALU_DEP_2)
	v_cvt_f64_u32_e32 v[15:16], v6
	v_cvt_f64_u32_e32 v[13:14], v13
	s_delay_alu instid0(VALU_DEP_1) | instskip(NEXT) | instid1(VALU_DEP_1)
	v_ldexp_f64 v[13:14], v[13:14], 32
	v_add_f64_e32 v[13:14], v[13:14], v[15:16]
	s_delay_alu instid0(VALU_DEP_1) | instskip(SKIP_2) | instid1(VALU_DEP_1)
	v_cmp_gt_f64_e32 vcc_lo, 0x10000000, v[13:14]
	s_wait_alu 0xfffd
	v_cndmask_b32_e64 v6, 0, 0x100, vcc_lo
	v_ldexp_f64 v[13:14], v[13:14], v6
	v_cndmask_b32_e64 v6, 0, 0xffffff80, vcc_lo
	s_delay_alu instid0(VALU_DEP_2) | instskip(SKIP_1) | instid1(TRANS32_DEP_1)
	v_rsq_f64_e32 v[15:16], v[13:14]
	v_cmp_class_f64_e64 vcc_lo, v[13:14], 0x260
	v_mul_f64_e32 v[17:18], v[13:14], v[15:16]
	v_mul_f64_e32 v[15:16], 0.5, v[15:16]
	s_delay_alu instid0(VALU_DEP_1) | instskip(NEXT) | instid1(VALU_DEP_1)
	v_fma_f64 v[19:20], -v[15:16], v[17:18], 0.5
	v_fma_f64 v[17:18], v[17:18], v[19:20], v[17:18]
	v_fma_f64 v[15:16], v[15:16], v[19:20], v[15:16]
	s_delay_alu instid0(VALU_DEP_2) | instskip(NEXT) | instid1(VALU_DEP_1)
	v_fma_f64 v[19:20], -v[17:18], v[17:18], v[13:14]
	v_fma_f64 v[17:18], v[19:20], v[15:16], v[17:18]
	s_delay_alu instid0(VALU_DEP_1) | instskip(NEXT) | instid1(VALU_DEP_1)
	v_fma_f64 v[19:20], -v[17:18], v[17:18], v[13:14]
	v_fma_f64 v[15:16], v[19:20], v[15:16], v[17:18]
	s_delay_alu instid0(VALU_DEP_1) | instskip(SKIP_2) | instid1(VALU_DEP_2)
	v_ldexp_f64 v[15:16], v[15:16], v6
	v_mul_lo_u32 v6, v10, s4
	s_wait_alu 0xfffd
	v_dual_cndmask_b32 v14, v16, v14 :: v_dual_cndmask_b32 v13, v15, v13
	s_delay_alu instid0(VALU_DEP_1) | instskip(NEXT) | instid1(VALU_DEP_1)
	v_fma_f64 v[13:14], v[13:14], 0.5, -0.5
	v_floor_f64_e32 v[13:14], v[13:14]
	s_delay_alu instid0(VALU_DEP_1) | instskip(NEXT) | instid1(VALU_DEP_1)
	v_add_f64_e64 v[13:14], v[1:2], -v[13:14]
	v_trunc_f64_e32 v[13:14], v[13:14]
	s_delay_alu instid0(VALU_DEP_1) | instskip(NEXT) | instid1(VALU_DEP_1)
	v_ldexp_f64 v[15:16], v[13:14], 0xffffffe0
	v_floor_f64_e32 v[15:16], v[15:16]
	s_delay_alu instid0(VALU_DEP_1) | instskip(SKIP_2) | instid1(VALU_DEP_3)
	v_fma_f64 v[13:14], 0xc1f00000, v[15:16], v[13:14]
	v_cvt_u32_f64_e32 v15, v[15:16]
	v_mad_co_u64_u32 v[16:17], null, v9, s4, 0
	v_cvt_u32_f64_e32 v14, v[13:14]
	v_mul_lo_u32 v13, v9, s5
	s_delay_alu instid0(VALU_DEP_1) | instskip(SKIP_1) | instid1(VALU_DEP_2)
	v_add3_u32 v17, v17, v13, v6
	v_mul_lo_u32 v6, v15, s20
	v_lshlrev_b64_e32 v[16:17], 3, v[16:17]
	v_sub_co_u32 v13, vcc_lo, s8, v14
	s_wait_alu 0xfffd
	v_sub_co_ci_u32_e64 v22, null, s9, v15, vcc_lo
	v_mul_lo_u32 v23, v14, s21
	v_mad_co_u64_u32 v[18:19], null, v14, s20, 0
	v_add_co_u32 v24, vcc_lo, v13, -1
	s_wait_alu 0xfffd
	v_add_co_ci_u32_e64 v25, null, -1, v22, vcc_lo
	v_sub_co_u32 v20, vcc_lo, v11, s26
	s_delay_alu instid0(VALU_DEP_4) | instskip(NEXT) | instid1(VALU_DEP_3)
	v_add3_u32 v19, v19, v23, v6
	v_mul_lo_u32 v6, v25, v13
	v_mul_lo_u32 v25, v24, v22
	v_mad_co_u64_u32 v[22:23], null, v24, v13, 0
	s_wait_alu 0xfffd
	v_subrev_co_ci_u32_e64 v21, null, s27, v12, vcc_lo
	v_lshlrev_b64_e32 v[18:19], 3, v[18:19]
	v_add_co_u32 v13, vcc_lo, s38, v16
	s_wait_alu 0xfffd
	v_add_co_ci_u32_e64 v16, null, s39, v17, vcc_lo
	v_lshlrev_b64_e32 v[20:21], 3, v[20:21]
	v_add3_u32 v23, v23, v25, v6
	v_add_co_u32 v6, vcc_lo, v13, v18
	s_wait_alu 0xfffd
	v_add_co_ci_u32_e64 v18, null, v16, v19, vcc_lo
	s_delay_alu instid0(VALU_DEP_3) | instskip(SKIP_4) | instid1(VALU_DEP_4)
	v_lshlrev_b64_e32 v[16:17], 2, v[22:23]
	v_lshlrev_b64_e32 v[13:14], 3, v[14:15]
	v_add_co_u32 v6, vcc_lo, v6, v20
	s_wait_alu 0xfffd
	v_add_co_ci_u32_e64 v15, null, v18, v21, vcc_lo
	v_and_b32_e32 v16, -8, v16
	s_delay_alu instid0(VALU_DEP_3) | instskip(SKIP_1) | instid1(VALU_DEP_3)
	v_add_co_u32 v6, vcc_lo, v6, v13
	s_wait_alu 0xfffd
	v_add_co_ci_u32_e64 v14, null, v15, v14, vcc_lo
	s_delay_alu instid0(VALU_DEP_2) | instskip(SKIP_1) | instid1(VALU_DEP_2)
	v_add_co_u32 v13, vcc_lo, v6, v16
	s_wait_alu 0xfffd
	v_add_co_ci_u32_e64 v14, null, v14, v17, vcc_lo
	v_mov_b32_e32 v6, v5
	global_store_b64 v[13:14], v[5:6], off offset:8
.LBB4_13:                               ;   in Loop: Header=BB4_6 Depth=2
	s_mov_b32 s0, 0
.LBB4_14:                               ;   in Loop: Header=BB4_6 Depth=2
	s_wait_alu 0xfffe
	s_and_not1_b32 vcc_lo, exec_lo, s0
	s_wait_alu 0xfffe
	s_cbranch_vccnz .LBB4_5
; %bb.15:                               ;   in Loop: Header=BB4_6 Depth=2
	s_cmp_lg_u32 s12, 0x79
	s_cbranch_scc1 .LBB4_5
; %bb.16:                               ;   in Loop: Header=BB4_6 Depth=2
	v_lshlrev_b64_e32 v[13:14], 3, v[11:12]
	s_delay_alu instid0(VALU_DEP_1) | instskip(NEXT) | instid1(VALU_DEP_2)
	v_cvt_f64_u32_e32 v[14:15], v14
	v_or_b32_e32 v6, 1, v13
	s_delay_alu instid0(VALU_DEP_1) | instskip(NEXT) | instid1(VALU_DEP_3)
	v_cvt_f64_u32_e32 v[16:17], v6
	v_ldexp_f64 v[13:14], v[14:15], 32
	s_delay_alu instid0(VALU_DEP_1) | instskip(NEXT) | instid1(VALU_DEP_1)
	v_add_f64_e32 v[13:14], v[13:14], v[16:17]
	v_cmp_gt_f64_e32 vcc_lo, 0x10000000, v[13:14]
	s_wait_alu 0xfffd
	v_cndmask_b32_e64 v6, 0, 0x100, vcc_lo
	s_delay_alu instid0(VALU_DEP_1) | instskip(SKIP_1) | instid1(VALU_DEP_2)
	v_ldexp_f64 v[13:14], v[13:14], v6
	v_cndmask_b32_e64 v6, 0, 0xffffff80, vcc_lo
	v_rsq_f64_e32 v[15:16], v[13:14]
	v_cmp_class_f64_e64 vcc_lo, v[13:14], 0x260
	s_delay_alu instid0(TRANS32_DEP_1) | instskip(SKIP_1) | instid1(VALU_DEP_1)
	v_mul_f64_e32 v[17:18], v[13:14], v[15:16]
	v_mul_f64_e32 v[15:16], 0.5, v[15:16]
	v_fma_f64 v[19:20], -v[15:16], v[17:18], 0.5
	s_delay_alu instid0(VALU_DEP_1) | instskip(SKIP_1) | instid1(VALU_DEP_2)
	v_fma_f64 v[17:18], v[17:18], v[19:20], v[17:18]
	v_fma_f64 v[15:16], v[15:16], v[19:20], v[15:16]
	v_fma_f64 v[19:20], -v[17:18], v[17:18], v[13:14]
	s_delay_alu instid0(VALU_DEP_1) | instskip(NEXT) | instid1(VALU_DEP_1)
	v_fma_f64 v[17:18], v[19:20], v[15:16], v[17:18]
	v_fma_f64 v[19:20], -v[17:18], v[17:18], v[13:14]
	s_delay_alu instid0(VALU_DEP_1) | instskip(SKIP_1) | instid1(VALU_DEP_2)
	v_fma_f64 v[15:16], v[19:20], v[15:16], v[17:18]
	v_mul_lo_u32 v18, v9, s5
	v_ldexp_f64 v[15:16], v[15:16], v6
	v_mul_lo_u32 v6, v10, s4
	v_mad_co_u64_u32 v[9:10], null, v9, s4, 0
	s_delay_alu instid0(VALU_DEP_1) | instskip(NEXT) | instid1(VALU_DEP_1)
	v_add3_u32 v10, v10, v18, v6
	v_lshlrev_b64_e32 v[9:10], 3, v[9:10]
	s_wait_alu 0xfffd
	v_dual_cndmask_b32 v14, v16, v14 :: v_dual_cndmask_b32 v13, v15, v13
	s_delay_alu instid0(VALU_DEP_1) | instskip(NEXT) | instid1(VALU_DEP_1)
	v_add_f64_e32 v[13:14], -1.0, v[13:14]
	v_mul_f64_e32 v[13:14], 0.5, v[13:14]
	s_delay_alu instid0(VALU_DEP_1) | instskip(NEXT) | instid1(VALU_DEP_1)
	v_trunc_f64_e32 v[13:14], v[13:14]
	v_ldexp_f64 v[15:16], v[13:14], 0xffffffe0
	s_delay_alu instid0(VALU_DEP_1) | instskip(NEXT) | instid1(VALU_DEP_1)
	v_floor_f64_e32 v[15:16], v[15:16]
	v_fma_f64 v[13:14], 0xc1f00000, v[15:16], v[13:14]
	v_cvt_u32_f64_e32 v15, v[15:16]
	s_delay_alu instid0(VALU_DEP_2) | instskip(NEXT) | instid1(VALU_DEP_1)
	v_cvt_u32_f64_e32 v14, v[13:14]
	v_mad_co_u64_u32 v[16:17], null, v14, v14, v[14:15]
	v_mul_lo_u32 v19, v14, v15
	v_mul_lo_u32 v15, s20, v15
	v_mul_lo_u32 v20, s21, v14
	v_mad_co_u64_u32 v[13:14], null, s20, v14, s[20:21]
	s_delay_alu instid0(VALU_DEP_4) | instskip(NEXT) | instid1(VALU_DEP_2)
	v_add3_u32 v17, v19, v17, v19
	v_add3_u32 v14, v20, v14, v15
	s_delay_alu instid0(VALU_DEP_2) | instskip(NEXT) | instid1(VALU_DEP_2)
	v_lshrrev_b64 v[15:16], 1, v[16:17]
	v_lshlrev_b64_e32 v[13:14], 3, v[13:14]
	s_delay_alu instid0(VALU_DEP_2) | instskip(SKIP_1) | instid1(VALU_DEP_3)
	v_sub_co_u32 v11, vcc_lo, v11, v15
	s_wait_alu 0xfffd
	v_sub_co_ci_u32_e64 v12, null, v12, v16, vcc_lo
	v_add_co_u32 v6, vcc_lo, s38, v9
	s_wait_alu 0xfffd
	v_add_co_ci_u32_e64 v15, null, s39, v10, vcc_lo
	s_delay_alu instid0(VALU_DEP_3) | instskip(NEXT) | instid1(VALU_DEP_3)
	v_lshlrev_b64_e32 v[9:10], 3, v[11:12]
	v_add_co_u32 v6, vcc_lo, v6, v13
	s_wait_alu 0xfffd
	s_delay_alu instid0(VALU_DEP_3) | instskip(NEXT) | instid1(VALU_DEP_2)
	v_add_co_ci_u32_e64 v11, null, v15, v14, vcc_lo
	v_add_co_u32 v9, vcc_lo, v6, v9
	s_wait_alu 0xfffd
	s_delay_alu instid0(VALU_DEP_2)
	v_add_co_ci_u32_e64 v10, null, v11, v10, vcc_lo
	v_mov_b32_e32 v6, v5
	global_store_b64 v[9:10], v[5:6], off
	s_branch .LBB4_5
.LBB4_17:
	s_endpgm
	.section	.rodata,"a",@progbits
	.p2align	6, 0x0
	.amdhsa_kernel _ZL18rocblas_trtri_fillILi128EdPdEvP15_rocblas_handle13rocblas_fill_ililT1_llii
		.amdhsa_group_segment_fixed_size 0
		.amdhsa_private_segment_fixed_size 0
		.amdhsa_kernarg_size 328
		.amdhsa_user_sgpr_count 2
		.amdhsa_user_sgpr_dispatch_ptr 0
		.amdhsa_user_sgpr_queue_ptr 0
		.amdhsa_user_sgpr_kernarg_segment_ptr 1
		.amdhsa_user_sgpr_dispatch_id 0
		.amdhsa_user_sgpr_private_segment_size 0
		.amdhsa_wavefront_size32 1
		.amdhsa_uses_dynamic_stack 0
		.amdhsa_enable_private_segment 0
		.amdhsa_system_sgpr_workgroup_id_x 1
		.amdhsa_system_sgpr_workgroup_id_y 0
		.amdhsa_system_sgpr_workgroup_id_z 1
		.amdhsa_system_sgpr_workgroup_info 0
		.amdhsa_system_vgpr_workitem_id 0
		.amdhsa_next_free_vgpr 26
		.amdhsa_next_free_sgpr 47
		.amdhsa_reserve_vcc 1
		.amdhsa_float_round_mode_32 0
		.amdhsa_float_round_mode_16_64 0
		.amdhsa_float_denorm_mode_32 3
		.amdhsa_float_denorm_mode_16_64 3
		.amdhsa_fp16_overflow 0
		.amdhsa_workgroup_processor_mode 1
		.amdhsa_memory_ordered 1
		.amdhsa_forward_progress 1
		.amdhsa_inst_pref_size 19
		.amdhsa_round_robin_scheduling 0
		.amdhsa_exception_fp_ieee_invalid_op 0
		.amdhsa_exception_fp_denorm_src 0
		.amdhsa_exception_fp_ieee_div_zero 0
		.amdhsa_exception_fp_ieee_overflow 0
		.amdhsa_exception_fp_ieee_underflow 0
		.amdhsa_exception_fp_ieee_inexact 0
		.amdhsa_exception_int_div_zero 0
	.end_amdhsa_kernel
	.section	.text._ZL18rocblas_trtri_fillILi128EdPdEvP15_rocblas_handle13rocblas_fill_ililT1_llii,"axG",@progbits,_ZL18rocblas_trtri_fillILi128EdPdEvP15_rocblas_handle13rocblas_fill_ililT1_llii,comdat
.Lfunc_end4:
	.size	_ZL18rocblas_trtri_fillILi128EdPdEvP15_rocblas_handle13rocblas_fill_ililT1_llii, .Lfunc_end4-_ZL18rocblas_trtri_fillILi128EdPdEvP15_rocblas_handle13rocblas_fill_ililT1_llii
                                        ; -- End function
	.set _ZL18rocblas_trtri_fillILi128EdPdEvP15_rocblas_handle13rocblas_fill_ililT1_llii.num_vgpr, 26
	.set _ZL18rocblas_trtri_fillILi128EdPdEvP15_rocblas_handle13rocblas_fill_ililT1_llii.num_agpr, 0
	.set _ZL18rocblas_trtri_fillILi128EdPdEvP15_rocblas_handle13rocblas_fill_ililT1_llii.numbered_sgpr, 47
	.set _ZL18rocblas_trtri_fillILi128EdPdEvP15_rocblas_handle13rocblas_fill_ililT1_llii.num_named_barrier, 0
	.set _ZL18rocblas_trtri_fillILi128EdPdEvP15_rocblas_handle13rocblas_fill_ililT1_llii.private_seg_size, 0
	.set _ZL18rocblas_trtri_fillILi128EdPdEvP15_rocblas_handle13rocblas_fill_ililT1_llii.uses_vcc, 1
	.set _ZL18rocblas_trtri_fillILi128EdPdEvP15_rocblas_handle13rocblas_fill_ililT1_llii.uses_flat_scratch, 0
	.set _ZL18rocblas_trtri_fillILi128EdPdEvP15_rocblas_handle13rocblas_fill_ililT1_llii.has_dyn_sized_stack, 0
	.set _ZL18rocblas_trtri_fillILi128EdPdEvP15_rocblas_handle13rocblas_fill_ililT1_llii.has_recursion, 0
	.set _ZL18rocblas_trtri_fillILi128EdPdEvP15_rocblas_handle13rocblas_fill_ililT1_llii.has_indirect_call, 0
	.section	.AMDGPU.csdata,"",@progbits
; Kernel info:
; codeLenInByte = 2408
; TotalNumSgprs: 49
; NumVgprs: 26
; ScratchSize: 0
; MemoryBound: 0
; FloatMode: 240
; IeeeMode: 1
; LDSByteSize: 0 bytes/workgroup (compile time only)
; SGPRBlocks: 0
; VGPRBlocks: 3
; NumSGPRsForWavesPerEU: 49
; NumVGPRsForWavesPerEU: 26
; Occupancy: 16
; WaveLimiterHint : 0
; COMPUTE_PGM_RSRC2:SCRATCH_EN: 0
; COMPUTE_PGM_RSRC2:USER_SGPR: 2
; COMPUTE_PGM_RSRC2:TRAP_HANDLER: 0
; COMPUTE_PGM_RSRC2:TGID_X_EN: 1
; COMPUTE_PGM_RSRC2:TGID_Y_EN: 0
; COMPUTE_PGM_RSRC2:TGID_Z_EN: 1
; COMPUTE_PGM_RSRC2:TIDIG_COMP_CNT: 0
	.section	.text._ZL26rocblas_trtri_small_kernelILi16EdPKdPdEv13rocblas_fill_17rocblas_diagonal_iT1_lillT2_lilli,"axG",@progbits,_ZL26rocblas_trtri_small_kernelILi16EdPKdPdEv13rocblas_fill_17rocblas_diagonal_iT1_lillT2_lilli,comdat
	.globl	_ZL26rocblas_trtri_small_kernelILi16EdPKdPdEv13rocblas_fill_17rocblas_diagonal_iT1_lillT2_lilli ; -- Begin function _ZL26rocblas_trtri_small_kernelILi16EdPKdPdEv13rocblas_fill_17rocblas_diagonal_iT1_lillT2_lilli
	.p2align	8
	.type	_ZL26rocblas_trtri_small_kernelILi16EdPKdPdEv13rocblas_fill_17rocblas_diagonal_iT1_lillT2_lilli,@function
_ZL26rocblas_trtri_small_kernelILi16EdPKdPdEv13rocblas_fill_17rocblas_diagonal_iT1_lillT2_lilli: ; @_ZL26rocblas_trtri_small_kernelILi16EdPKdPdEv13rocblas_fill_17rocblas_diagonal_iT1_lillT2_lilli
; %bb.0:
	s_load_b32 s23, s[0:1], 0x60
	s_lshr_b32 s2, ttmp7, 16
	s_wait_kmcnt 0x0
	s_cmp_ge_u32 s2, s23
	s_cbranch_scc1 .LBB5_38
; %bb.1:
	s_clause 0x5
	s_load_b32 s28, s[0:1], 0x20
	s_load_b32 s30, s[0:1], 0x48
	s_load_b96 s[20:22], s[0:1], 0x0
	s_load_b256 s[4:11], s[0:1], 0x28
	s_load_b128 s[16:19], s[0:1], 0x10
	s_load_b128 s[12:15], s[0:1], 0x50
	s_mov_b32 s3, 0
	s_mov_b32 s26, ttmp9
	s_mov_b32 s27, s3
	s_mov_b32 s35, s3
	v_lshlrev_b32_e32 v5, 3, v0
	v_add_nc_u32_e32 v10, 1, v0
	s_wait_kmcnt 0x0
	s_ashr_i32 s29, s28, 31
	s_ashr_i32 s31, s30, 31
	s_cmp_gt_i32 s22, 0
	s_mul_u64 s[6:7], s[6:7], s[26:27]
	s_cselect_b32 s24, -1, 0
	s_cmp_lg_u32 s20, 0x7a
	s_mul_u64 s[14:15], s[14:15], s[26:27]
	s_cselect_b32 s20, -1, 0
	s_add_co_i32 s34, s22, -1
	s_cmp_lg_u32 s21, 0x84
	s_mul_u64 s[36:37], s[28:29], s[34:35]
	s_cselect_b32 s21, -1, 0
	s_lshl_b64 s[6:7], s[6:7], 3
	s_lshl_b64 s[18:19], s[18:19], 3
	;; [unrolled: 1-line block ×3, first 2 shown]
	s_add_nc_u64 s[38:39], s[6:7], s[18:19]
	s_lshl_b64 s[14:15], s[14:15], 3
	s_add_nc_u64 s[6:7], s[38:39], s[36:37]
	s_lshl_b64 s[10:11], s[10:11], 3
	s_add_nc_u64 s[6:7], s[16:17], s[6:7]
	s_add_nc_u64 s[16:17], s[16:17], s[38:39]
	v_add_co_u32 v8, s1, s6, v5
	s_delay_alu instid0(VALU_DEP_1)
	v_add_co_ci_u32_e64 v9, null, s7, 0, s1
	v_add_co_u32 v11, s1, s16, v5
	s_wait_alu 0xf1ff
	v_add_co_ci_u32_e64 v12, null, s17, 0, s1
	s_mul_u64 s[16:17], s[30:31], s[34:35]
	s_add_nc_u64 s[10:11], s[14:15], s[10:11]
	s_wait_alu 0xfffe
	s_lshl_b64 s[26:27], s[16:17], 3
	v_mul_lo_u32 v1, v0, s22
	s_add_nc_u64 s[14:15], s[10:11], s[26:27]
	v_sub_nc_u32_e32 v2, s34, v0
	s_add_nc_u64 s[14:15], s[8:9], s[14:15]
	s_add_nc_u64 s[8:9], s[8:9], s[10:11]
	v_add_co_u32 v14, s1, s14, v5
	s_lshl_b32 s25, s22, 3
	v_add_co_ci_u32_e64 v15, null, s15, 0, s1
	v_add_co_u32 v16, s1, s8, v5
	v_cmp_gt_u32_e64 s0, s22, v0
	v_add_lshl_u32 v6, v1, v0, 3
	v_lshlrev_b32_e32 v7, 3, v2
	v_add_nc_u32_e32 v13, s25, v5
	s_wait_alu 0xf1ff
	v_add_co_ci_u32_e64 v17, null, s9, 0, s1
	s_lshl_b64 s[6:7], s[28:29], 3
	s_lshl_b64 s[8:9], s[30:31], 3
	;; [unrolled: 1-line block ×3, first 2 shown]
	s_wait_alu 0xfffe
	s_sub_nc_u64 s[18:19], 0, s[6:7]
	s_add_co_i32 s16, s25, 8
	s_lshl_b64 s[10:11], s[12:13], 3
	s_sub_nc_u64 s[12:13], 0, s[8:9]
	s_branch .LBB5_4
.LBB5_2:                                ;   in Loop: Header=BB5_4 Depth=1
	s_wait_alu 0xfffe
	s_or_b32 exec_lo, exec_lo, s17
.LBB5_3:                                ;   in Loop: Header=BB5_4 Depth=1
	s_add_co_i32 s2, s2, 0x10000
	s_delay_alu instid0(SALU_CYCLE_1)
	s_cmp_lt_u32 s2, s23
	s_cbranch_scc0 .LBB5_38
.LBB5_4:                                ; =>This Loop Header: Depth=1
                                        ;     Child Loop BB5_8 Depth 2
                                        ;     Child Loop BB5_12 Depth 2
	;; [unrolled: 1-line block ×3, first 2 shown]
                                        ;       Child Loop BB5_26 Depth 3
                                        ;     Child Loop BB5_33 Depth 2
                                        ;     Child Loop BB5_37 Depth 2
	s_and_not1_b32 vcc_lo, exec_lo, s24
	s_wait_alu 0xfffe
	s_cbranch_vccnz .LBB5_3
; %bb.5:                                ;   in Loop: Header=BB5_4 Depth=1
	s_and_saveexec_b32 s17, s0
	s_cbranch_execz .LBB5_13
; %bb.6:                                ;   in Loop: Header=BB5_4 Depth=1
	s_mul_u64 s[14:15], s[4:5], s[2:3]
	s_and_not1_b32 vcc_lo, exec_lo, s20
	s_mov_b32 s1, -1
	s_wait_alu 0xfffe
	s_cbranch_vccnz .LBB5_10
; %bb.7:                                ;   in Loop: Header=BB5_4 Depth=1
	v_add_co_u32 v1, vcc_lo, v8, s14
	s_wait_alu 0xfffd
	v_add_co_ci_u32_e64 v2, null, s15, v9, vcc_lo
	v_mov_b32_e32 v3, v7
	s_mov_b32 s26, 0
	s_mov_b32 s27, s22
.LBB5_8:                                ;   Parent Loop BB5_4 Depth=1
                                        ; =>  This Inner Loop Header: Depth=2
	global_load_b64 v[18:19], v[1:2], off
	s_wait_alu 0xfffe
	s_add_co_i32 s27, s27, -1
	v_add_co_u32 v1, vcc_lo, v1, s18
	s_wait_alu 0xfffe
	v_cmp_le_u32_e64 s1, s27, v0
	s_wait_alu 0xfffd
	v_add_co_ci_u32_e64 v2, null, s19, v2, vcc_lo
	s_or_b32 s26, s1, s26
	s_wait_loadcnt 0x0
	ds_store_b64 v3, v[18:19]
	v_add_nc_u32_e32 v3, s25, v3
	s_wait_alu 0xfffe
	s_and_not1_b32 exec_lo, exec_lo, s26
	s_cbranch_execnz .LBB5_8
; %bb.9:                                ;   in Loop: Header=BB5_4 Depth=1
	s_or_b32 exec_lo, exec_lo, s26
	s_mov_b32 s1, 0
.LBB5_10:                               ;   in Loop: Header=BB5_4 Depth=1
	s_wait_alu 0xfffe
	s_and_b32 vcc_lo, exec_lo, s1
	s_wait_alu 0xfffe
	s_cbranch_vccz .LBB5_13
; %bb.11:                               ;   in Loop: Header=BB5_4 Depth=1
	v_add_co_u32 v1, vcc_lo, v11, s14
	s_wait_alu 0xfffd
	v_add_co_ci_u32_e64 v2, null, s15, v12, vcc_lo
	v_dual_mov_b32 v3, v5 :: v_dual_mov_b32 v4, v10
	s_mov_b32 s14, 0
.LBB5_12:                               ;   Parent Loop BB5_4 Depth=1
                                        ; =>  This Inner Loop Header: Depth=2
	global_load_b64 v[18:19], v[1:2], off
	v_add_nc_u32_e32 v4, -1, v4
	v_add_co_u32 v1, vcc_lo, v1, s6
	s_wait_alu 0xfffd
	v_add_co_ci_u32_e64 v2, null, s7, v2, vcc_lo
	s_delay_alu instid0(VALU_DEP_3)
	v_cmp_eq_u32_e64 s1, 0, v4
	s_wait_alu 0xfffe
	s_or_b32 s14, s1, s14
	s_wait_loadcnt 0x0
	ds_store_b64 v3, v[18:19]
	v_add_nc_u32_e32 v3, s25, v3
	s_wait_alu 0xfffe
	s_and_not1_b32 exec_lo, exec_lo, s14
	s_cbranch_execnz .LBB5_12
.LBB5_13:                               ;   in Loop: Header=BB5_4 Depth=1
	s_wait_alu 0xfffe
	s_or_b32 exec_lo, exec_lo, s17
	s_wait_dscnt 0x0
	; wave barrier
	global_inv scope:SCOPE_SE
	s_and_saveexec_b32 s1, s0
	s_cbranch_execz .LBB5_19
; %bb.14:                               ;   in Loop: Header=BB5_4 Depth=1
	v_mov_b32_e32 v3, 0
	v_mov_b32_e32 v4, 0x3ff00000
	s_and_not1_b32 vcc_lo, exec_lo, s21
	s_wait_alu 0xfffe
	s_cbranch_vccnz .LBB5_18
; %bb.15:                               ;   in Loop: Header=BB5_4 Depth=1
	ds_load_b64 v[1:2], v6
	v_mov_b32_e32 v3, 0
	v_mov_b32_e32 v4, 0x3ff00000
	s_mov_b32 s14, exec_lo
	s_wait_dscnt 0x0
	v_cmpx_neq_f64_e32 0, v[1:2]
	s_cbranch_execz .LBB5_17
; %bb.16:                               ;   in Loop: Header=BB5_4 Depth=1
	v_div_scale_f64 v[3:4], null, v[1:2], v[1:2], 1.0
	s_delay_alu instid0(VALU_DEP_1) | instskip(NEXT) | instid1(TRANS32_DEP_1)
	v_rcp_f64_e32 v[18:19], v[3:4]
	v_fma_f64 v[20:21], -v[3:4], v[18:19], 1.0
	s_delay_alu instid0(VALU_DEP_1) | instskip(NEXT) | instid1(VALU_DEP_1)
	v_fma_f64 v[18:19], v[18:19], v[20:21], v[18:19]
	v_fma_f64 v[20:21], -v[3:4], v[18:19], 1.0
	s_delay_alu instid0(VALU_DEP_1) | instskip(SKIP_1) | instid1(VALU_DEP_1)
	v_fma_f64 v[18:19], v[18:19], v[20:21], v[18:19]
	v_div_scale_f64 v[20:21], vcc_lo, 1.0, v[1:2], 1.0
	v_mul_f64_e32 v[22:23], v[20:21], v[18:19]
	s_delay_alu instid0(VALU_DEP_1) | instskip(SKIP_1) | instid1(VALU_DEP_1)
	v_fma_f64 v[3:4], -v[3:4], v[22:23], v[20:21]
	s_wait_alu 0xfffd
	v_div_fmas_f64 v[3:4], v[3:4], v[18:19], v[22:23]
	s_delay_alu instid0(VALU_DEP_1)
	v_div_fixup_f64 v[3:4], v[3:4], v[1:2], 1.0
.LBB5_17:                               ;   in Loop: Header=BB5_4 Depth=1
	s_wait_alu 0xfffe
	s_or_b32 exec_lo, exec_lo, s14
.LBB5_18:                               ;   in Loop: Header=BB5_4 Depth=1
	ds_store_b64 v6, v[3:4]
.LBB5_19:                               ;   in Loop: Header=BB5_4 Depth=1
	s_wait_alu 0xfffe
	s_or_b32 exec_lo, exec_lo, s1
	v_mov_b32_e32 v3, v13
	s_mov_b32 s1, 0
	s_mov_b32 s14, 8
	; wave barrier
	s_wait_loadcnt_dscnt 0x0
	global_inv scope:SCOPE_SE
	s_branch .LBB5_21
.LBB5_20:                               ;   in Loop: Header=BB5_21 Depth=2
	v_add_nc_u32_e32 v3, s25, v3
	s_add_co_i32 s14, s14, s16
	s_cmp_eq_u32 s1, s22
	s_wait_loadcnt 0x0
	; wave barrier
	global_inv scope:SCOPE_SE
	s_cbranch_scc1 .LBB5_30
.LBB5_21:                               ;   Parent Loop BB5_4 Depth=1
                                        ; =>  This Loop Header: Depth=2
                                        ;       Child Loop BB5_26 Depth 3
	v_mov_b32_e32 v1, 0
	v_mov_b32_e32 v2, 0
	s_wait_alu 0xfffe
	s_mul_i32 s15, s1, s22
	s_mov_b32 s17, exec_lo
	v_cmpx_lt_u32_e64 s1, v0
	s_cbranch_execz .LBB5_23
; %bb.22:                               ;   in Loop: Header=BB5_21 Depth=2
	s_lshl_b32 s26, s1, 3
	s_wait_alu 0xfffe
	s_lshl_b32 s27, s15, 3
	s_wait_alu 0xfffe
	s_add_co_i32 s26, s26, s27
	s_wait_alu 0xfffe
	v_dual_mov_b32 v4, s26 :: v_dual_add_nc_u32 v1, s27, v5
	ds_load_b64 v[1:2], v1
	ds_load_b64 v[18:19], v4
	s_wait_dscnt 0x0
	v_fma_f64 v[1:2], v[1:2], v[18:19], 0
.LBB5_23:                               ;   in Loop: Header=BB5_21 Depth=2
	s_wait_alu 0xfffe
	s_or_b32 exec_lo, exec_lo, s17
	s_add_co_i32 s1, s1, 1
	s_wait_loadcnt 0x0
	s_wait_alu 0xfffe
	s_cmp_ge_i32 s1, s22
	; wave barrier
	global_inv scope:SCOPE_SE
	s_cbranch_scc1 .LBB5_20
; %bb.24:                               ;   in Loop: Header=BB5_21 Depth=2
	v_lshl_add_u32 v4, s15, 3, v5
	v_mov_b32_e32 v18, v3
	s_mov_b32 s15, s14
	s_mov_b32 s17, s1
	s_branch .LBB5_26
.LBB5_25:                               ;   in Loop: Header=BB5_26 Depth=3
	s_wait_alu 0xfffe
	s_or_b32 exec_lo, exec_lo, s26
	v_add_nc_u32_e32 v18, s25, v18
	s_add_co_i32 s17, s17, 1
	s_add_co_i32 s15, s15, 8
	s_wait_alu 0xfffe
	s_cmp_eq_u32 s22, s17
	s_wait_loadcnt 0x0
	; wave barrier
	global_inv scope:SCOPE_SE
	s_cbranch_scc1 .LBB5_20
.LBB5_26:                               ;   Parent Loop BB5_4 Depth=1
                                        ;     Parent Loop BB5_21 Depth=2
                                        ; =>    This Inner Loop Header: Depth=3
	s_mov_b32 s26, exec_lo
	s_wait_alu 0xfffe
	v_cmpx_eq_u32_e64 s17, v0
	s_cbranch_execz .LBB5_28
; %bb.27:                               ;   in Loop: Header=BB5_26 Depth=3
	v_add_f64_e64 v[19:20], -v[1:2], 0
	ds_load_b64 v[21:22], v6
	s_wait_dscnt 0x0
	v_mul_f64_e32 v[19:20], v[19:20], v[21:22]
	ds_store_b64 v4, v[19:20]
.LBB5_28:                               ;   in Loop: Header=BB5_26 Depth=3
	s_or_b32 exec_lo, exec_lo, s26
	s_delay_alu instid0(SALU_CYCLE_1)
	s_mov_b32 s26, exec_lo
	; wave barrier
	s_wait_loadcnt_dscnt 0x0
	global_inv scope:SCOPE_SE
	v_cmpx_lt_u32_e64 s17, v0
	s_cbranch_execz .LBB5_25
; %bb.29:                               ;   in Loop: Header=BB5_26 Depth=3
	v_mov_b32_e32 v21, s15
	ds_load_b64 v[19:20], v18
	ds_load_b64 v[21:22], v21
	s_wait_dscnt 0x0
	v_fma_f64 v[1:2], v[19:20], v[21:22], v[1:2]
	s_branch .LBB5_25
.LBB5_30:                               ;   in Loop: Header=BB5_4 Depth=1
	s_and_saveexec_b32 s17, s0
	s_cbranch_execz .LBB5_2
; %bb.31:                               ;   in Loop: Header=BB5_4 Depth=1
	s_mul_u64 s[14:15], s[10:11], s[2:3]
	s_and_not1_b32 vcc_lo, exec_lo, s20
	s_mov_b32 s1, -1
	s_wait_alu 0xfffe
	s_cbranch_vccnz .LBB5_35
; %bb.32:                               ;   in Loop: Header=BB5_4 Depth=1
	v_add_co_u32 v1, vcc_lo, v14, s14
	s_wait_alu 0xfffd
	v_add_co_ci_u32_e64 v2, null, s15, v15, vcc_lo
	v_mov_b32_e32 v3, v7
	s_mov_b32 s26, 0
	s_mov_b32 s27, s22
.LBB5_33:                               ;   Parent Loop BB5_4 Depth=1
                                        ; =>  This Inner Loop Header: Depth=2
	ds_load_b64 v[18:19], v3
	s_wait_alu 0xfffe
	s_add_co_i32 s27, s27, -1
	v_add_nc_u32_e32 v3, s25, v3
	s_wait_alu 0xfffe
	v_cmp_le_u32_e32 vcc_lo, s27, v0
	s_or_b32 s26, vcc_lo, s26
	s_wait_dscnt 0x0
	global_store_b64 v[1:2], v[18:19], off
	v_add_co_u32 v1, s1, v1, s12
	s_wait_alu 0xf1ff
	v_add_co_ci_u32_e64 v2, null, s13, v2, s1
	s_wait_alu 0xfffe
	s_and_not1_b32 exec_lo, exec_lo, s26
	s_cbranch_execnz .LBB5_33
; %bb.34:                               ;   in Loop: Header=BB5_4 Depth=1
	s_or_b32 exec_lo, exec_lo, s26
	s_mov_b32 s1, 0
.LBB5_35:                               ;   in Loop: Header=BB5_4 Depth=1
	s_wait_alu 0xfffe
	s_and_b32 vcc_lo, exec_lo, s1
	s_wait_alu 0xfffe
	s_cbranch_vccz .LBB5_2
; %bb.36:                               ;   in Loop: Header=BB5_4 Depth=1
	v_add_co_u32 v1, vcc_lo, v16, s14
	s_wait_alu 0xfffd
	v_add_co_ci_u32_e64 v2, null, s15, v17, vcc_lo
	v_dual_mov_b32 v3, v5 :: v_dual_mov_b32 v4, v10
	s_mov_b32 s14, 0
.LBB5_37:                               ;   Parent Loop BB5_4 Depth=1
                                        ; =>  This Inner Loop Header: Depth=2
	ds_load_b64 v[18:19], v3
	v_add_nc_u32_e32 v4, -1, v4
	v_add_nc_u32_e32 v3, s25, v3
	s_delay_alu instid0(VALU_DEP_2)
	v_cmp_eq_u32_e32 vcc_lo, 0, v4
	s_wait_alu 0xfffe
	s_or_b32 s14, vcc_lo, s14
	s_wait_dscnt 0x0
	global_store_b64 v[1:2], v[18:19], off
	v_add_co_u32 v1, s1, v1, s8
	s_wait_alu 0xf1ff
	v_add_co_ci_u32_e64 v2, null, s9, v2, s1
	s_wait_alu 0xfffe
	s_and_not1_b32 exec_lo, exec_lo, s14
	s_cbranch_execnz .LBB5_37
	s_branch .LBB5_2
.LBB5_38:
	s_endpgm
	.section	.rodata,"a",@progbits
	.p2align	6, 0x0
	.amdhsa_kernel _ZL26rocblas_trtri_small_kernelILi16EdPKdPdEv13rocblas_fill_17rocblas_diagonal_iT1_lillT2_lilli
		.amdhsa_group_segment_fixed_size 2048
		.amdhsa_private_segment_fixed_size 0
		.amdhsa_kernarg_size 100
		.amdhsa_user_sgpr_count 2
		.amdhsa_user_sgpr_dispatch_ptr 0
		.amdhsa_user_sgpr_queue_ptr 0
		.amdhsa_user_sgpr_kernarg_segment_ptr 1
		.amdhsa_user_sgpr_dispatch_id 0
		.amdhsa_user_sgpr_private_segment_size 0
		.amdhsa_wavefront_size32 1
		.amdhsa_uses_dynamic_stack 0
		.amdhsa_enable_private_segment 0
		.amdhsa_system_sgpr_workgroup_id_x 1
		.amdhsa_system_sgpr_workgroup_id_y 0
		.amdhsa_system_sgpr_workgroup_id_z 1
		.amdhsa_system_sgpr_workgroup_info 0
		.amdhsa_system_vgpr_workitem_id 0
		.amdhsa_next_free_vgpr 24
		.amdhsa_next_free_sgpr 40
		.amdhsa_reserve_vcc 1
		.amdhsa_float_round_mode_32 0
		.amdhsa_float_round_mode_16_64 0
		.amdhsa_float_denorm_mode_32 3
		.amdhsa_float_denorm_mode_16_64 3
		.amdhsa_fp16_overflow 0
		.amdhsa_workgroup_processor_mode 1
		.amdhsa_memory_ordered 1
		.amdhsa_forward_progress 1
		.amdhsa_inst_pref_size 13
		.amdhsa_round_robin_scheduling 0
		.amdhsa_exception_fp_ieee_invalid_op 0
		.amdhsa_exception_fp_denorm_src 0
		.amdhsa_exception_fp_ieee_div_zero 0
		.amdhsa_exception_fp_ieee_overflow 0
		.amdhsa_exception_fp_ieee_underflow 0
		.amdhsa_exception_fp_ieee_inexact 0
		.amdhsa_exception_int_div_zero 0
	.end_amdhsa_kernel
	.section	.text._ZL26rocblas_trtri_small_kernelILi16EdPKdPdEv13rocblas_fill_17rocblas_diagonal_iT1_lillT2_lilli,"axG",@progbits,_ZL26rocblas_trtri_small_kernelILi16EdPKdPdEv13rocblas_fill_17rocblas_diagonal_iT1_lillT2_lilli,comdat
.Lfunc_end5:
	.size	_ZL26rocblas_trtri_small_kernelILi16EdPKdPdEv13rocblas_fill_17rocblas_diagonal_iT1_lillT2_lilli, .Lfunc_end5-_ZL26rocblas_trtri_small_kernelILi16EdPKdPdEv13rocblas_fill_17rocblas_diagonal_iT1_lillT2_lilli
                                        ; -- End function
	.set _ZL26rocblas_trtri_small_kernelILi16EdPKdPdEv13rocblas_fill_17rocblas_diagonal_iT1_lillT2_lilli.num_vgpr, 24
	.set _ZL26rocblas_trtri_small_kernelILi16EdPKdPdEv13rocblas_fill_17rocblas_diagonal_iT1_lillT2_lilli.num_agpr, 0
	.set _ZL26rocblas_trtri_small_kernelILi16EdPKdPdEv13rocblas_fill_17rocblas_diagonal_iT1_lillT2_lilli.numbered_sgpr, 40
	.set _ZL26rocblas_trtri_small_kernelILi16EdPKdPdEv13rocblas_fill_17rocblas_diagonal_iT1_lillT2_lilli.num_named_barrier, 0
	.set _ZL26rocblas_trtri_small_kernelILi16EdPKdPdEv13rocblas_fill_17rocblas_diagonal_iT1_lillT2_lilli.private_seg_size, 0
	.set _ZL26rocblas_trtri_small_kernelILi16EdPKdPdEv13rocblas_fill_17rocblas_diagonal_iT1_lillT2_lilli.uses_vcc, 1
	.set _ZL26rocblas_trtri_small_kernelILi16EdPKdPdEv13rocblas_fill_17rocblas_diagonal_iT1_lillT2_lilli.uses_flat_scratch, 0
	.set _ZL26rocblas_trtri_small_kernelILi16EdPKdPdEv13rocblas_fill_17rocblas_diagonal_iT1_lillT2_lilli.has_dyn_sized_stack, 0
	.set _ZL26rocblas_trtri_small_kernelILi16EdPKdPdEv13rocblas_fill_17rocblas_diagonal_iT1_lillT2_lilli.has_recursion, 0
	.set _ZL26rocblas_trtri_small_kernelILi16EdPKdPdEv13rocblas_fill_17rocblas_diagonal_iT1_lillT2_lilli.has_indirect_call, 0
	.section	.AMDGPU.csdata,"",@progbits
; Kernel info:
; codeLenInByte = 1600
; TotalNumSgprs: 42
; NumVgprs: 24
; ScratchSize: 0
; MemoryBound: 0
; FloatMode: 240
; IeeeMode: 1
; LDSByteSize: 2048 bytes/workgroup (compile time only)
; SGPRBlocks: 0
; VGPRBlocks: 2
; NumSGPRsForWavesPerEU: 42
; NumVGPRsForWavesPerEU: 24
; Occupancy: 16
; WaveLimiterHint : 0
; COMPUTE_PGM_RSRC2:SCRATCH_EN: 0
; COMPUTE_PGM_RSRC2:USER_SGPR: 2
; COMPUTE_PGM_RSRC2:TRAP_HANDLER: 0
; COMPUTE_PGM_RSRC2:TGID_X_EN: 1
; COMPUTE_PGM_RSRC2:TGID_Y_EN: 0
; COMPUTE_PGM_RSRC2:TGID_Z_EN: 1
; COMPUTE_PGM_RSRC2:TIDIG_COMP_CNT: 0
	.section	.text._ZL29rocblas_trtri_diagonal_kernelILi16EdPKdPdEv13rocblas_fill_17rocblas_diagonal_iT1_lillT2_lilli,"axG",@progbits,_ZL29rocblas_trtri_diagonal_kernelILi16EdPKdPdEv13rocblas_fill_17rocblas_diagonal_iT1_lillT2_lilli,comdat
	.globl	_ZL29rocblas_trtri_diagonal_kernelILi16EdPKdPdEv13rocblas_fill_17rocblas_diagonal_iT1_lillT2_lilli ; -- Begin function _ZL29rocblas_trtri_diagonal_kernelILi16EdPKdPdEv13rocblas_fill_17rocblas_diagonal_iT1_lillT2_lilli
	.p2align	8
	.type	_ZL29rocblas_trtri_diagonal_kernelILi16EdPKdPdEv13rocblas_fill_17rocblas_diagonal_iT1_lillT2_lilli,@function
_ZL29rocblas_trtri_diagonal_kernelILi16EdPKdPdEv13rocblas_fill_17rocblas_diagonal_iT1_lillT2_lilli: ; @_ZL29rocblas_trtri_diagonal_kernelILi16EdPKdPdEv13rocblas_fill_17rocblas_diagonal_iT1_lillT2_lilli
; %bb.0:
	s_load_b32 s33, s[0:1], 0x60
	s_lshr_b32 s24, ttmp7, 16
	s_wait_kmcnt 0x0
	s_cmp_ge_u32 s24, s33
	s_cbranch_scc1 .LBB6_81
; %bb.1:
	s_clause 0x5
	s_load_b96 s[4:6], s[0:1], 0x0
	s_load_b128 s[20:23], s[0:1], 0x10
	s_load_b32 s34, s[0:1], 0x20
	s_load_b32 s30, s[0:1], 0x48
	s_load_b256 s[8:15], s[0:1], 0x28
	s_load_b128 s[16:19], s[0:1], 0x50
	s_mov_b32 s25, 0
	v_dual_mov_b32 v2, 0 :: v_dual_lshlrev_b32 v7, 3, v0
	s_mov_b32 s1, s25
	s_mov_b32 s3, s25
	s_mov_b32 s27, s25
	s_mov_b32 s43, s25
	s_mov_b32 s29, s25
	s_wait_kmcnt 0x0
	s_ashr_i32 s35, s34, 31
	s_ashr_i32 s2, s6, 31
	;; [unrolled: 1-line block ×3, first 2 shown]
	s_lshr_b32 s2, s2, 27
	s_lshl_b64 s[36:37], s[14:15], 3
	s_add_co_i32 s2, s6, s2
	s_lshl_b64 s[14:15], s[34:35], 5
	s_ashr_i32 s7, s2, 5
	s_add_nc_u64 s[44:45], s[12:13], s[36:37]
	s_cvt_f32_u32 s2, s7
	s_add_nc_u64 s[14:15], s[14:15], 32
	s_delay_alu instid0(SALU_CYCLE_2) | instskip(NEXT) | instid1(TRANS32_DEP_1)
	v_rcp_iflag_f32_e32 v1, s2
	v_readfirstlane_b32 s2, v1
	v_cvt_f32_ubyte0_e32 v1, v0
	s_mul_f32 s0, s2, 0x4f7ffffe
	s_sub_co_i32 s2, 0, s7
	s_delay_alu instid0(SALU_CYCLE_2) | instskip(SKIP_1) | instid1(SALU_CYCLE_2)
	s_cvt_u32_f32 s0, s0
	s_wait_alu 0xfffe
	s_mul_i32 s2, s2, s0
	s_wait_alu 0xfffe
	s_mul_hi_u32 s2, s0, s2
	s_wait_alu 0xfffe
	s_add_co_i32 s0, s0, s2
	s_delay_alu instid0(SALU_CYCLE_1) | instskip(NEXT) | instid1(SALU_CYCLE_1)
	s_mul_hi_u32 s0, ttmp9, s0
	s_mul_i32 s2, s0, s7
	s_add_co_i32 s26, s0, 1
	s_wait_alu 0xfffe
	s_sub_co_i32 s2, ttmp9, s2
	s_wait_alu 0xfffe
	s_sub_co_i32 s28, s2, s7
	s_cmp_ge_u32 s2, s7
	s_cselect_b32 s0, s26, s0
	s_cselect_b32 s2, s28, s2
	s_add_co_i32 s26, s0, 1
	s_wait_alu 0xfffe
	s_cmp_ge_u32 s2, s7
	s_cselect_b32 s2, s26, s0
	s_lshl_b64 s[38:39], s[30:31], 5
	s_wait_alu 0xfffe
	s_mul_i32 s0, s2, s7
	s_add_nc_u64 s[40:41], s[38:39], 32
	s_sub_co_i32 s0, ttmp9, s0
	s_mul_u64 s[18:19], s[18:19], s[2:3]
	s_mul_u64 s[48:49], s[10:11], s[2:3]
	;; [unrolled: 1-line block ×3, first 2 shown]
	s_lshl_b32 s7, s0, 4
	s_wait_alu 0xfffe
	s_lshl_b64 s[40:41], s[2:3], 3
	s_sub_co_i32 s2, s6, s7
	s_lshl_b64 s[38:39], s[18:19], 3
	s_wait_alu 0xfffe
	s_min_u32 s26, s2, 16
	s_cmp_lg_u32 s6, s7
	v_cvt_f32_ubyte0_e32 v9, s26
	s_mul_u64 s[18:19], s[14:15], s[0:1]
	s_add_nc_u64 s[0:1], s[44:45], s[40:41]
	s_cselect_b32 s44, -1, 0
	s_lshl_b32 s52, s26, 1
	v_rcp_iflag_f32_e32 v10, v9
	v_mov_b32_e32 v3, s26
	v_cmp_gt_u32_e64 s2, s52, v0
	v_cmp_gt_u32_e32 vcc_lo, s26, v0
	s_mul_u64 s[6:7], s[26:27], s[34:35]
	s_mul_u64 s[14:15], s[26:27], s[30:31]
	s_cmp_lg_u32 s4, 0x7a
	v_cndmask_b32_e64 v4, 0, 0x1800, s2
	s_cselect_b32 s45, -1, 0
	s_cmp_lg_u32 s5, 0x84
	v_mul_f32_e32 v10, v1, v10
	v_cndmask_b32_e64 v11, s52, v3, s2
	s_add_nc_u64 s[4:5], s[6:7], s[26:27]
	s_add_nc_u64 s[6:7], s[14:15], s[26:27]
	s_cselect_b32 s46, -1, 0
	v_trunc_f32_e32 v10, v10
	v_cndmask_b32_e64 v18, v11, 0, vcc_lo
	s_add_co_i32 s42, s26, -1
	v_cndmask_b32_e64 v8, v4, 0x1000, vcc_lo
	v_cndmask_b32_e64 v4, s5, 0, vcc_lo
	v_fma_f32 v11, -v10, v9, v1
	v_cndmask_b32_e64 v3, s4, 0, vcc_lo
	v_cndmask_b32_e64 v6, s7, 0, vcc_lo
	;; [unrolled: 1-line block ×3, first 2 shown]
	v_cvt_u32_f32_e32 v10, v10
	v_cmp_ge_f32_e64 vcc_lo, |v11|, v9
	s_lshl_b32 s28, s26, 3
	s_lshl_b64 s[50:51], s[48:49], 3
	s_lshl_b64 s[18:19], s[18:19], 3
	;; [unrolled: 1-line block ×4, first 2 shown]
	s_add_nc_u64 s[4:5], s[50:51], s[18:19]
	s_wait_alu 0xfffe
	s_add_nc_u64 s[6:7], s[28:29], s[6:7]
	s_wait_alu 0xfffd
	v_add_co_ci_u32_e64 v13, null, 0, v10, vcc_lo
	s_add_nc_u64 s[50:51], s[4:5], s[22:23]
	s_wait_alu 0xfffe
	s_mul_u64 s[4:5], s[6:7], s[34:35]
	v_sub_nc_u32_e32 v1, v0, v18
	s_wait_alu 0xfffe
	s_add_nc_u64 s[4:5], s[50:51], s[4:5]
	v_lshlrev_b32_e32 v34, 3, v18
	s_wait_alu 0xfffe
	v_add_co_u32 v10, s4, s4, v7
	v_mul_lo_u16 v14, v13, s26
	s_wait_alu 0xf1ff
	v_add_co_ci_u32_e64 v11, null, s5, 0, s4
	v_add_nc_u32_e32 v16, s26, v1
	v_sub_co_u32 v17, vcc_lo, v10, v34
	v_sub_nc_u16 v14, v0, v14
	s_add_co_i32 s47, s26, 1
	s_lshl_b64 s[18:19], s[34:35], 3
	s_mul_u64 s[34:35], s[34:35], s[42:43]
	v_lshlrev_b64_e32 v[3:4], 3, v[3:4]
	v_mul_i32_i24_e32 v15, s47, v1
	s_wait_alu 0xfffd
	v_subrev_co_ci_u32_e64 v19, null, 0, v11, vcc_lo
	s_lshl_b64 s[34:35], s[34:35], 3
	v_and_b32_e32 v10, 0xffff, v14
	v_add_co_u32 v14, vcc_lo, s20, v17
	v_ashrrev_i32_e32 v17, 31, v16
	s_add_nc_u64 s[34:35], s[50:51], s[34:35]
	v_lshl_add_u32 v11, v15, 3, v8
	s_wait_alu 0xfffd
	v_add_co_ci_u32_e64 v15, null, s21, v19, vcc_lo
	v_add_co_u32 v19, vcc_lo, s34, v3
	v_lshlrev_b64_e32 v[16:17], 3, v[16:17]
	s_wait_alu 0xfffd
	v_add_co_ci_u32_e64 v20, null, s35, v4, vcc_lo
	s_delay_alu instid0(VALU_DEP_3)
	v_add_co_u32 v19, vcc_lo, v19, v7
	s_add_nc_u64 s[34:35], s[20:21], s[50:51]
	s_wait_alu 0xfffd
	v_add_co_ci_u32_e64 v20, null, 0, v20, vcc_lo
	s_wait_alu 0xfffe
	v_add_co_u32 v16, vcc_lo, s34, v16
	s_wait_alu 0xfffd
	v_add_co_ci_u32_e64 v17, null, s35, v17, vcc_lo
	v_sub_co_u32 v19, vcc_lo, v19, v34
	s_wait_alu 0xfffd
	v_subrev_co_ci_u32_e64 v20, null, 0, v20, vcc_lo
	v_add_lshl_u32 v21, v18, s26, 3
	s_delay_alu instid0(VALU_DEP_3) | instskip(SKIP_1) | instid1(VALU_DEP_3)
	v_add_co_u32 v18, vcc_lo, s20, v19
	s_wait_alu 0xfffd
	v_add_co_ci_u32_e64 v19, null, s21, v20, vcc_lo
	v_add_co_u32 v3, vcc_lo, s50, v3
	s_wait_alu 0xfffd
	v_add_co_ci_u32_e64 v4, null, s51, v4, vcc_lo
	s_add_nc_u64 s[10:11], s[0:1], s[38:39]
	v_add_co_u32 v3, vcc_lo, v3, v7
	s_mul_i32 s0, s26, 3
	s_mul_i32 s1, s26, s26
	v_cmp_gt_u32_e64 s0, s0, v0
	v_cmp_gt_u32_e64 s1, s1, v0
	v_cmp_le_u32_e64 s3, s52, v0
	v_and_b32_e32 v0, 0xffff, v13
	v_cmp_gt_u16_e64 s6, 16, v13
	v_lshlrev_b32_e32 v13, 3, v10
	v_sub_nc_u32_e32 v20, v21, v7
	s_wait_alu 0xfffd
	v_add_co_ci_u32_e64 v4, null, 0, v4, vcc_lo
	v_add_nc_u32_e32 v21, s28, v7
	v_sub_co_u32 v3, vcc_lo, v3, v34
	s_wait_alu 0xfffd
	s_delay_alu instid0(VALU_DEP_3) | instskip(NEXT) | instid1(VALU_DEP_3)
	v_subrev_co_ci_u32_e64 v4, null, 0, v4, vcc_lo
	v_sub_nc_u32_e32 v24, v21, v34
	s_delay_alu instid0(VALU_DEP_3)
	v_add_co_u32 v21, vcc_lo, s20, v3
	v_sub_nc_u32_e32 v3, s28, v13
	s_wait_alu 0xfffd
	v_add_co_ci_u32_e64 v22, null, s21, v4, vcc_lo
	s_add_nc_u64 s[20:21], s[26:27], -1
	s_add_nc_u64 s[34:35], s[38:39], s[40:41]
	v_mul_lo_u32 v3, s26, v3
	s_wait_alu 0xfffe
	s_mul_u64 s[20:21], s[20:21], s[30:31]
	s_mul_i32 s49, s26, s42
	s_wait_alu 0xfffe
	s_lshl_b64 s[20:21], s[20:21], 3
	v_lshl_add_u32 v12, s49, 3, v7
	s_wait_alu 0xfffe
	s_add_nc_u64 s[20:21], s[34:35], s[20:21]
	v_mul_u32_u24_e32 v30, s26, v0
	s_wait_alu 0xfffe
	s_add_nc_u64 s[20:21], s[36:37], s[20:21]
	v_sub_nc_u32_e32 v31, v3, v13
	v_lshlrev_b64_e32 v[3:4], 3, v[5:6]
	v_sub_nc_u32_e32 v12, v12, v34
	v_mad_co_i64_i32 v[41:42], null, v0, s30, 0
	v_lshlrev_b32_e32 v39, 7, v0
	v_add_nc_u32_e32 v43, s26, v10
	s_wait_alu 0xfffe
	v_add_co_u32 v5, vcc_lo, s20, v3
	s_wait_alu 0xfffd
	v_add_co_ci_u32_e64 v6, null, s21, v4, vcc_lo
	s_add_nc_u64 s[20:21], s[36:37], s[34:35]
	v_add_co_u32 v5, vcc_lo, v5, v7
	s_wait_alu 0xfffd
	v_add_co_ci_u32_e64 v6, null, 0, v6, vcc_lo
	v_add_nc_u32_e32 v40, 0x800, v13
	s_delay_alu instid0(VALU_DEP_3) | instskip(SKIP_1) | instid1(VALU_DEP_3)
	v_sub_co_u32 v5, vcc_lo, v5, v34
	s_wait_alu 0xfffd
	v_subrev_co_ci_u32_e64 v6, null, 0, v6, vcc_lo
	s_wait_alu 0xfffe
	v_add_co_u32 v7, vcc_lo, s20, v3
	v_lshlrev_b64_e32 v[2:3], 3, v[1:2]
	s_wait_alu 0xfffd
	v_add_co_ci_u32_e64 v4, null, s21, v4, vcc_lo
	v_add_co_u32 v34, vcc_lo, s12, v5
	s_wait_alu 0xfffd
	v_add_co_ci_u32_e64 v35, null, s13, v6, vcc_lo
	v_add_co_u32 v2, vcc_lo, v7, v2
	s_wait_alu 0xfffd
	v_add_co_ci_u32_e64 v3, null, v4, v3, vcc_lo
	v_lshlrev_b32_e32 v32, 3, v30
	s_delay_alu instid0(VALU_DEP_3)
	v_add_co_u32 v37, vcc_lo, s12, v2
	s_movk_i32 s7, 0x88
	s_wait_alu 0xfffd
	v_add_co_ci_u32_e64 v38, null, s13, v3, vcc_lo
	v_lshlrev_b64_e32 v[2:3], 3, v[41:42]
	v_lshl_add_u32 v9, v1, 3, v8
	v_cmp_gt_i32_e64 s4, s26, v1
	v_cmp_lt_i32_e64 s5, -1, v1
	v_add_nc_u32_e32 v12, v8, v12
	v_add3_u32 v20, v20, v8, -8
	v_or_b32_e32 v23, 8, v8
	v_add_nc_u32_e32 v24, v8, v24
	v_sub_nc_u32_e32 v25, 0x1ff8, v39
	v_add_nc_u32_e32 v26, -1, v0
	s_wait_alu 0xfffe
	v_mad_u32_u24 v27, v0, s7, 0x1000
	v_add_nc_u32_e32 v28, v39, v13
	v_add_nc_u32_e32 v29, -1, v10
	v_add3_u32 v30, v32, v13, 0x800
	v_add_nc_u32_e32 v31, 0xff8, v31
	v_add_nc_u32_e32 v32, 0x800, v32
	;; [unrolled: 1-line block ×5, first 2 shown]
	v_lshlrev_b32_e32 v40, 3, v10
	v_lshlrev_b32_e32 v41, 3, v43
	s_lshl_b64 s[12:13], s[30:31], 3
	s_sub_co_i32 s48, 0, s28
	s_lshl_b64 s[8:9], s[8:9], 3
	s_sub_nc_u64 s[22:23], 0, s[18:19]
	s_add_co_i32 s29, s28, 8
	s_lshl_b64 s[20:21], s[16:17], 3
	s_wait_alu 0xfffe
	s_sub_nc_u64 s[30:31], 0, s[12:13]
	s_branch .LBB6_4
.LBB6_2:                                ;   in Loop: Header=BB6_4 Depth=1
	s_wait_alu 0xfffe
	s_or_b32 exec_lo, exec_lo, s27
.LBB6_3:                                ;   in Loop: Header=BB6_4 Depth=1
	s_add_co_i32 s24, s24, 0x10000
	s_delay_alu instid0(SALU_CYCLE_1)
	s_cmp_lt_u32 s24, s33
	s_cbranch_scc0 .LBB6_81
.LBB6_4:                                ; =>This Loop Header: Depth=1
                                        ;     Child Loop BB6_9 Depth 2
                                        ;     Child Loop BB6_13 Depth 2
	;; [unrolled: 1-line block ×5, first 2 shown]
                                        ;       Child Loop BB6_41 Depth 3
                                        ;     Child Loop BB6_48 Depth 2
                                        ;     Child Loop BB6_55 Depth 2
	;; [unrolled: 1-line block ×6, first 2 shown]
	s_and_not1_b32 vcc_lo, exec_lo, s44
	s_wait_alu 0xfffe
	s_cbranch_vccnz .LBB6_3
; %bb.5:                                ;   in Loop: Header=BB6_4 Depth=1
	s_mul_u64 s[34:35], s[8:9], s[24:25]
	s_and_saveexec_b32 s7, s3
	s_wait_alu 0xfffe
	s_xor_b32 s7, exec_lo, s7
	s_cbranch_execz .LBB6_15
; %bb.6:                                ;   in Loop: Header=BB6_4 Depth=1
	s_and_saveexec_b32 s27, s0
	s_cbranch_execz .LBB6_14
; %bb.7:                                ;   in Loop: Header=BB6_4 Depth=1
	s_and_not1_b32 vcc_lo, exec_lo, s45
	s_mov_b32 s36, -1
	s_wait_alu 0xfffe
	s_cbranch_vccnz .LBB6_11
; %bb.8:                                ;   in Loop: Header=BB6_4 Depth=1
	v_add_co_u32 v4, vcc_lo, v14, s34
	s_wait_alu 0xfffd
	v_add_co_ci_u32_e64 v5, null, s35, v15, vcc_lo
	v_mov_b32_e32 v6, v12
	s_mov_b32 s36, s47
.LBB6_9:                                ;   Parent Loop BB6_4 Depth=1
                                        ; =>  This Inner Loop Header: Depth=2
	global_load_b64 v[42:43], v[4:5], off
	v_add_co_u32 v4, vcc_lo, v4, s22
	s_wait_alu 0xfffd
	v_add_co_ci_u32_e64 v5, null, s23, v5, vcc_lo
	s_wait_alu 0xfffe
	s_add_co_i32 s36, s36, -1
	s_wait_alu 0xfffe
	s_cmp_gt_u32 s36, 1
	s_wait_loadcnt 0x0
	ds_store_b64 v6, v[42:43]
	v_add_nc_u32_e32 v6, s48, v6
	s_cbranch_scc1 .LBB6_9
; %bb.10:                               ;   in Loop: Header=BB6_4 Depth=1
	s_mov_b32 s36, 0
.LBB6_11:                               ;   in Loop: Header=BB6_4 Depth=1
	s_wait_alu 0xfffe
	s_and_b32 vcc_lo, exec_lo, s36
	s_wait_alu 0xfffe
	s_cbranch_vccz .LBB6_14
; %bb.12:                               ;   in Loop: Header=BB6_4 Depth=1
	v_add_co_u32 v4, vcc_lo, v16, s34
	s_wait_alu 0xfffd
	v_add_co_ci_u32_e64 v5, null, s35, v17, vcc_lo
	v_mov_b32_e32 v6, v9
	s_mov_b32 s36, s26
.LBB6_13:                               ;   Parent Loop BB6_4 Depth=1
                                        ; =>  This Inner Loop Header: Depth=2
	global_load_b64 v[42:43], v[4:5], off
	v_add_co_u32 v4, vcc_lo, v4, s18
	s_wait_alu 0xfffd
	v_add_co_ci_u32_e64 v5, null, s19, v5, vcc_lo
	s_wait_alu 0xfffe
	s_add_co_i32 s36, s36, -1
	s_wait_alu 0xfffe
	s_cmp_eq_u32 s36, 0
	s_wait_loadcnt 0x0
	ds_store_b64 v6, v[42:43]
	v_add_nc_u32_e32 v6, s28, v6
	s_cbranch_scc0 .LBB6_13
.LBB6_14:                               ;   in Loop: Header=BB6_4 Depth=1
	s_wait_alu 0xfffe
	s_or_b32 exec_lo, exec_lo, s27
.LBB6_15:                               ;   in Loop: Header=BB6_4 Depth=1
	s_wait_alu 0xfffe
	s_and_not1_saveexec_b32 s7, s7
	s_cbranch_execz .LBB6_27
; %bb.16:                               ;   in Loop: Header=BB6_4 Depth=1
	s_and_b32 vcc_lo, exec_lo, s45
	s_mov_b32 s27, -1
	s_wait_alu 0xfffe
	s_cbranch_vccz .LBB6_22
; %bb.17:                               ;   in Loop: Header=BB6_4 Depth=1
	v_add_co_u32 v4, vcc_lo, v18, s34
	s_wait_alu 0xfffd
	v_add_co_ci_u32_e64 v5, null, s35, v19, vcc_lo
	v_mov_b32_e32 v42, v20
	s_mov_b32 s27, s26
	s_branch .LBB6_19
.LBB6_18:                               ;   in Loop: Header=BB6_19 Depth=2
	s_or_b32 exec_lo, exec_lo, s36
	v_add_co_u32 v4, vcc_lo, v4, s22
	s_wait_loadcnt 0x0
	ds_store_b64 v42, v[6:7]
	s_wait_alu 0xfffd
	v_add_co_ci_u32_e64 v5, null, s23, v5, vcc_lo
	v_add_nc_u32_e32 v42, s28, v42
	s_cmp_lt_i32 s27, 1
	s_cbranch_scc1 .LBB6_21
.LBB6_19:                               ;   Parent Loop BB6_4 Depth=1
                                        ; =>  This Inner Loop Header: Depth=2
	v_mov_b32_e32 v6, 0
	v_mov_b32_e32 v7, 0
	s_wait_alu 0xfffe
	s_add_co_i32 s27, s27, -1
	s_mov_b32 s36, exec_lo
	s_wait_alu 0xfffe
	v_cmpx_ge_i32_e64 s27, v1
	s_cbranch_execz .LBB6_18
; %bb.20:                               ;   in Loop: Header=BB6_19 Depth=2
	global_load_b64 v[6:7], v[4:5], off
	s_branch .LBB6_18
.LBB6_21:                               ;   in Loop: Header=BB6_4 Depth=1
	s_mov_b32 s27, 0
.LBB6_22:                               ;   in Loop: Header=BB6_4 Depth=1
	s_wait_alu 0xfffe
	s_and_b32 vcc_lo, exec_lo, s27
	s_wait_alu 0xfffe
	s_cbranch_vccz .LBB6_27
; %bb.23:                               ;   in Loop: Header=BB6_4 Depth=1
	v_add_co_u32 v4, vcc_lo, v21, s34
	s_wait_alu 0xfffd
	v_add_co_ci_u32_e64 v5, null, s35, v22, vcc_lo
	v_mov_b32_e32 v42, v9
	s_mov_b32 s27, 0
	s_branch .LBB6_25
.LBB6_24:                               ;   in Loop: Header=BB6_25 Depth=2
	s_or_b32 exec_lo, exec_lo, s34
	v_add_co_u32 v4, vcc_lo, v4, s18
	s_wait_loadcnt 0x0
	ds_store_b64 v42, v[6:7]
	s_wait_alu 0xfffd
	v_add_co_ci_u32_e64 v5, null, s19, v5, vcc_lo
	v_add_nc_u32_e32 v42, s28, v42
	s_add_co_i32 s27, s27, 1
	s_wait_alu 0xfffe
	s_cmp_eq_u32 s26, s27
	s_cbranch_scc1 .LBB6_27
.LBB6_25:                               ;   Parent Loop BB6_4 Depth=1
                                        ; =>  This Inner Loop Header: Depth=2
	v_mov_b32_e32 v6, 0
	v_mov_b32_e32 v7, 0
	s_mov_b32 s34, exec_lo
	s_wait_alu 0xfffe
	v_cmpx_le_i32_e64 s27, v1
	s_cbranch_execz .LBB6_24
; %bb.26:                               ;   in Loop: Header=BB6_25 Depth=2
	global_load_b64 v[6:7], v[4:5], off
	s_branch .LBB6_24
.LBB6_27:                               ;   in Loop: Header=BB6_4 Depth=1
	s_wait_alu 0xfffe
	s_or_b32 exec_lo, exec_lo, s7
	s_wait_dscnt 0x0
	s_barrier_signal -1
	s_barrier_wait -1
	global_inv scope:SCOPE_SE
	s_and_saveexec_b32 s7, s2
	s_cbranch_execz .LBB6_33
; %bb.28:                               ;   in Loop: Header=BB6_4 Depth=1
	v_mov_b32_e32 v6, 0
	v_mov_b32_e32 v7, 0x3ff00000
	s_and_not1_b32 vcc_lo, exec_lo, s46
	s_wait_alu 0xfffe
	s_cbranch_vccnz .LBB6_32
; %bb.29:                               ;   in Loop: Header=BB6_4 Depth=1
	ds_load_b64 v[4:5], v11
	v_mov_b32_e32 v6, 0
	v_mov_b32_e32 v7, 0x3ff00000
	s_mov_b32 s27, exec_lo
	s_wait_dscnt 0x0
	v_cmpx_neq_f64_e32 0, v[4:5]
	s_cbranch_execz .LBB6_31
; %bb.30:                               ;   in Loop: Header=BB6_4 Depth=1
	v_div_scale_f64 v[6:7], null, v[4:5], v[4:5], 1.0
	s_delay_alu instid0(VALU_DEP_1) | instskip(NEXT) | instid1(TRANS32_DEP_1)
	v_rcp_f64_e32 v[42:43], v[6:7]
	v_fma_f64 v[44:45], -v[6:7], v[42:43], 1.0
	s_delay_alu instid0(VALU_DEP_1) | instskip(NEXT) | instid1(VALU_DEP_1)
	v_fma_f64 v[42:43], v[42:43], v[44:45], v[42:43]
	v_fma_f64 v[44:45], -v[6:7], v[42:43], 1.0
	s_delay_alu instid0(VALU_DEP_1) | instskip(SKIP_1) | instid1(VALU_DEP_1)
	v_fma_f64 v[42:43], v[42:43], v[44:45], v[42:43]
	v_div_scale_f64 v[44:45], vcc_lo, 1.0, v[4:5], 1.0
	v_mul_f64_e32 v[46:47], v[44:45], v[42:43]
	s_delay_alu instid0(VALU_DEP_1) | instskip(SKIP_1) | instid1(VALU_DEP_1)
	v_fma_f64 v[6:7], -v[6:7], v[46:47], v[44:45]
	s_wait_alu 0xfffd
	v_div_fmas_f64 v[6:7], v[6:7], v[42:43], v[46:47]
	s_delay_alu instid0(VALU_DEP_1)
	v_div_fixup_f64 v[6:7], v[6:7], v[4:5], 1.0
.LBB6_31:                               ;   in Loop: Header=BB6_4 Depth=1
	s_wait_alu 0xfffe
	s_or_b32 exec_lo, exec_lo, s27
.LBB6_32:                               ;   in Loop: Header=BB6_4 Depth=1
	ds_store_b64 v11, v[6:7]
.LBB6_33:                               ;   in Loop: Header=BB6_4 Depth=1
	s_wait_alu 0xfffe
	s_or_b32 exec_lo, exec_lo, s7
	s_wait_loadcnt_dscnt 0x0
	s_barrier_signal -1
	s_barrier_wait -1
	global_inv scope:SCOPE_SE
	s_and_saveexec_b32 s7, s2
	s_cbranch_execz .LBB6_45
; %bb.34:                               ;   in Loop: Header=BB6_4 Depth=1
	v_dual_mov_b32 v6, v24 :: v_dual_mov_b32 v7, v23
	s_mov_b32 s27, 0
	s_branch .LBB6_36
.LBB6_35:                               ;   in Loop: Header=BB6_36 Depth=2
	v_add_nc_u32_e32 v7, s29, v7
	v_add_nc_u32_e32 v6, s28, v6
	s_cmp_eq_u32 s27, s26
	s_cbranch_scc1 .LBB6_45
.LBB6_36:                               ;   Parent Loop BB6_4 Depth=1
                                        ; =>  This Loop Header: Depth=2
                                        ;       Child Loop BB6_41 Depth 3
	v_mov_b32_e32 v4, 0
	v_mov_b32_e32 v5, 0
	s_wait_alu 0xfffe
	s_mul_i32 s34, s27, s26
	s_mov_b32 s35, exec_lo
	v_cmpx_lt_i32_e64 s27, v1
	s_cbranch_execz .LBB6_38
; %bb.37:                               ;   in Loop: Header=BB6_36 Depth=2
	s_wait_alu 0xfffe
	s_lshl_b32 s36, s34, 3
	s_lshl_b32 s37, s27, 3
	s_wait_alu 0xfffe
	v_add_nc_u32_e32 v4, s36, v9
	v_add3_u32 v42, s36, s37, v8
	ds_load_b64 v[4:5], v4
	ds_load_b64 v[42:43], v42
	s_wait_dscnt 0x0
	v_fma_f64 v[4:5], v[4:5], v[42:43], 0
.LBB6_38:                               ;   in Loop: Header=BB6_36 Depth=2
	s_wait_alu 0xfffe
	s_or_b32 exec_lo, exec_lo, s35
	s_add_co_i32 s27, s27, 1
	s_wait_alu 0xfffe
	s_cmp_ge_u32 s27, s26
	s_cbranch_scc1 .LBB6_35
; %bb.39:                               ;   in Loop: Header=BB6_36 Depth=2
	v_lshl_add_u32 v42, s34, 3, v9
	v_dual_mov_b32 v43, v6 :: v_dual_mov_b32 v44, v7
	s_mov_b32 s34, s27
	s_branch .LBB6_41
.LBB6_40:                               ;   in Loop: Header=BB6_41 Depth=3
	s_wait_alu 0xfffe
	s_or_b32 exec_lo, exec_lo, s35
	v_add_nc_u32_e32 v44, 8, v44
	v_add_nc_u32_e32 v43, s28, v43
	s_add_co_i32 s34, s34, 1
	s_wait_alu 0xfffe
	s_cmp_eq_u32 s26, s34
	s_cbranch_scc1 .LBB6_35
.LBB6_41:                               ;   Parent Loop BB6_4 Depth=1
                                        ;     Parent Loop BB6_36 Depth=2
                                        ; =>    This Inner Loop Header: Depth=3
	s_mov_b32 s35, exec_lo
	s_wait_alu 0xfffe
	v_cmpx_eq_u32_e64 s34, v1
	s_cbranch_execz .LBB6_43
; %bb.42:                               ;   in Loop: Header=BB6_41 Depth=3
	s_delay_alu instid0(VALU_DEP_4)
	v_add_f64_e64 v[45:46], -v[4:5], 0
	ds_load_b64 v[47:48], v11
	s_wait_dscnt 0x0
	v_mul_f64_e32 v[45:46], v[45:46], v[47:48]
	ds_store_b64 v42, v[45:46]
.LBB6_43:                               ;   in Loop: Header=BB6_41 Depth=3
	s_or_b32 exec_lo, exec_lo, s35
	s_delay_alu instid0(SALU_CYCLE_1)
	s_mov_b32 s35, exec_lo
	v_cmpx_lt_i32_e64 s34, v1
	s_cbranch_execz .LBB6_40
; %bb.44:                               ;   in Loop: Header=BB6_41 Depth=3
	ds_load_b64 v[45:46], v43
	ds_load_b64 v[47:48], v44
	s_wait_dscnt 0x0
	v_fma_f64 v[4:5], v[45:46], v[47:48], v[4:5]
	s_branch .LBB6_40
.LBB6_45:                               ;   in Loop: Header=BB6_4 Depth=1
	s_wait_alu 0xfffe
	s_or_b32 exec_lo, exec_lo, s7
	s_delay_alu instid0(SALU_CYCLE_1)
	s_and_b32 vcc_lo, exec_lo, s45
	s_mov_b32 s7, -1
	s_wait_loadcnt_dscnt 0x0
	s_barrier_signal -1
	s_barrier_wait -1
	global_inv scope:SCOPE_SE
	s_wait_alu 0xfffe
	s_cbranch_vccz .LBB6_51
; %bb.46:                               ;   in Loop: Header=BB6_4 Depth=1
	s_and_saveexec_b32 s7, s1
	s_cbranch_execz .LBB6_50
; %bb.47:                               ;   in Loop: Header=BB6_4 Depth=1
	v_dual_mov_b32 v4, 0 :: v_dual_mov_b32 v7, v25
	v_dual_mov_b32 v5, 0 :: v_dual_mov_b32 v6, v13
	s_mov_b32 s34, -1
	s_mov_b32 s27, 0
.LBB6_48:                               ;   Parent Loop BB6_4 Depth=1
                                        ; =>  This Inner Loop Header: Depth=2
	ds_load_b64 v[42:43], v6
	ds_load_b64 v[44:45], v7
	s_wait_alu 0xfffe
	s_add_co_i32 s34, s34, 1
	v_add_nc_u32_e32 v7, -8, v7
	s_wait_alu 0xfffe
	v_cmp_ge_u32_e32 vcc_lo, s34, v0
	v_add_nc_u32_e32 v6, 0x80, v6
	s_or_b32 s27, vcc_lo, s27
	s_wait_dscnt 0x0
	v_fma_f64 v[4:5], v[42:43], v[44:45], v[4:5]
	s_wait_alu 0xfffe
	s_and_not1_b32 exec_lo, exec_lo, s27
	s_cbranch_execnz .LBB6_48
; %bb.49:                               ;   in Loop: Header=BB6_4 Depth=1
	s_or_b32 exec_lo, exec_lo, s27
	ds_store_b64 v39, v[4:5]
.LBB6_50:                               ;   in Loop: Header=BB6_4 Depth=1
	s_wait_alu 0xfffe
	s_or_b32 exec_lo, exec_lo, s7
	s_mov_b32 s7, 0
.LBB6_51:                               ;   in Loop: Header=BB6_4 Depth=1
	s_wait_alu 0xfffe
	s_and_not1_b32 vcc_lo, exec_lo, s7
	s_wait_alu 0xfffe
	s_cbranch_vccnz .LBB6_59
; %bb.52:                               ;   in Loop: Header=BB6_4 Depth=1
	s_and_saveexec_b32 s7, s1
	s_cbranch_execz .LBB6_58
; %bb.53:                               ;   in Loop: Header=BB6_4 Depth=1
	v_mov_b32_e32 v4, 0
	v_mov_b32_e32 v5, 0
	s_and_saveexec_b32 s27, s6
	s_cbranch_execz .LBB6_57
; %bb.54:                               ;   in Loop: Header=BB6_4 Depth=1
	v_dual_mov_b32 v4, 0 :: v_dual_mov_b32 v7, v27
	v_dual_mov_b32 v5, 0 :: v_dual_mov_b32 v6, v28
	v_mov_b32_e32 v42, v26
	s_mov_b32 s34, 0
.LBB6_55:                               ;   Parent Loop BB6_4 Depth=1
                                        ; =>  This Inner Loop Header: Depth=2
	ds_load_b64 v[43:44], v6
	ds_load_b64 v[45:46], v7
	v_add_nc_u32_e32 v42, 1, v42
	v_add_nc_u32_e32 v7, 8, v7
	;; [unrolled: 1-line block ×3, first 2 shown]
	s_delay_alu instid0(VALU_DEP_3)
	v_cmp_lt_u32_e32 vcc_lo, 14, v42
	s_wait_alu 0xfffe
	s_or_b32 s34, vcc_lo, s34
	s_wait_dscnt 0x0
	v_fma_f64 v[4:5], v[43:44], v[45:46], v[4:5]
	s_wait_alu 0xfffe
	s_and_not1_b32 exec_lo, exec_lo, s34
	s_cbranch_execnz .LBB6_55
; %bb.56:                               ;   in Loop: Header=BB6_4 Depth=1
	s_or_b32 exec_lo, exec_lo, s34
.LBB6_57:                               ;   in Loop: Header=BB6_4 Depth=1
	s_wait_alu 0xfffe
	s_or_b32 exec_lo, exec_lo, s27
	ds_store_b64 v39, v[4:5]
.LBB6_58:                               ;   in Loop: Header=BB6_4 Depth=1
	s_wait_alu 0xfffe
	s_or_b32 exec_lo, exec_lo, s7
.LBB6_59:                               ;   in Loop: Header=BB6_4 Depth=1
	s_mul_u64 s[34:35], s[16:17], s[24:25]
	s_and_b32 vcc_lo, exec_lo, s45
	s_wait_alu 0xfffe
	s_lshl_b64 s[34:35], s[34:35], 3
	s_mov_b32 s7, -1
	s_wait_alu 0xfffe
	s_add_nc_u64 s[34:35], s[10:11], s[34:35]
	s_wait_loadcnt_dscnt 0x0
	s_barrier_signal -1
	s_barrier_wait -1
	global_inv scope:SCOPE_SE
	s_cbranch_vccnz .LBB6_62
; %bb.60:                               ;   in Loop: Header=BB6_4 Depth=1
	s_and_not1_b32 vcc_lo, exec_lo, s7
	s_wait_alu 0xfffe
	s_cbranch_vccz .LBB6_67
.LBB6_61:                               ;   in Loop: Header=BB6_4 Depth=1
	s_and_saveexec_b32 s27, s2
	s_cbranch_execz .LBB6_2
	s_branch .LBB6_72
.LBB6_62:                               ;   in Loop: Header=BB6_4 Depth=1
	s_and_saveexec_b32 s7, s1
	s_cbranch_execz .LBB6_66
; %bb.63:                               ;   in Loop: Header=BB6_4 Depth=1
	v_dual_mov_b32 v4, 0 :: v_dual_mov_b32 v7, v30
	v_dual_mov_b32 v5, 0 :: v_dual_mov_b32 v6, v31
	v_mov_b32_e32 v42, v29
	s_mov_b32 s27, 0
.LBB6_64:                               ;   Parent Loop BB6_4 Depth=1
                                        ; =>  This Inner Loop Header: Depth=2
	ds_load_b64 v[43:44], v6
	ds_load_b64 v[45:46], v7
	v_add_nc_u32_e32 v42, 1, v42
	v_add_nc_u32_e32 v7, 8, v7
	;; [unrolled: 1-line block ×3, first 2 shown]
	s_delay_alu instid0(VALU_DEP_3)
	v_cmp_lt_u32_e32 vcc_lo, 14, v42
	s_wait_alu 0xfffe
	s_or_b32 s27, vcc_lo, s27
	s_wait_dscnt 0x0
	v_fma_f64 v[4:5], -v[43:44], v[45:46], v[4:5]
	s_wait_alu 0xfffe
	s_and_not1_b32 exec_lo, exec_lo, s27
	s_cbranch_execnz .LBB6_64
; %bb.65:                               ;   in Loop: Header=BB6_4 Depth=1
	s_or_b32 exec_lo, exec_lo, s27
	s_lshl_b64 s[36:37], s[14:15], 3
	s_wait_alu 0xfffe
	s_add_nc_u64 s[36:37], s[34:35], s[36:37]
	s_wait_alu 0xfffe
	v_add_co_u32 v6, s27, s36, v40
	s_wait_alu 0xf1ff
	v_add_co_ci_u32_e64 v7, null, s37, 0, s27
	s_delay_alu instid0(VALU_DEP_2) | instskip(SKIP_1) | instid1(VALU_DEP_2)
	v_add_co_u32 v6, vcc_lo, v6, v2
	s_wait_alu 0xfffd
	v_add_co_ci_u32_e64 v7, null, v7, v3, vcc_lo
	global_store_b64 v[6:7], v[4:5], off
.LBB6_66:                               ;   in Loop: Header=BB6_4 Depth=1
	s_wait_alu 0xfffe
	s_or_b32 exec_lo, exec_lo, s7
	s_cbranch_execnz .LBB6_61
.LBB6_67:                               ;   in Loop: Header=BB6_4 Depth=1
	s_and_saveexec_b32 s7, s1
	s_cbranch_execz .LBB6_71
; %bb.68:                               ;   in Loop: Header=BB6_4 Depth=1
	v_dual_mov_b32 v4, 0 :: v_dual_mov_b32 v7, v32
	v_dual_mov_b32 v5, 0 :: v_dual_mov_b32 v6, v33
	s_mov_b32 s36, -1
	s_mov_b32 s27, 0
.LBB6_69:                               ;   Parent Loop BB6_4 Depth=1
                                        ; =>  This Inner Loop Header: Depth=2
	ds_load_b64 v[42:43], v6
	ds_load_b64 v[44:45], v7
	s_wait_alu 0xfffe
	s_add_co_i32 s36, s36, 1
	v_add_nc_u32_e32 v7, 8, v7
	s_wait_alu 0xfffe
	v_cmp_ge_u32_e32 vcc_lo, s36, v10
	v_add_nc_u32_e32 v6, s28, v6
	s_or_b32 s27, vcc_lo, s27
	s_wait_dscnt 0x0
	v_fma_f64 v[4:5], -v[42:43], v[44:45], v[4:5]
	s_wait_alu 0xfffe
	s_and_not1_b32 exec_lo, exec_lo, s27
	s_cbranch_execnz .LBB6_69
; %bb.70:                               ;   in Loop: Header=BB6_4 Depth=1
	s_or_b32 exec_lo, exec_lo, s27
	v_add_co_u32 v6, vcc_lo, s34, v2
	s_wait_alu 0xfffd
	v_add_co_ci_u32_e64 v7, null, s35, v3, vcc_lo
	s_delay_alu instid0(VALU_DEP_2) | instskip(SKIP_1) | instid1(VALU_DEP_2)
	v_add_co_u32 v6, vcc_lo, v6, v41
	s_wait_alu 0xfffd
	v_add_co_ci_u32_e64 v7, null, 0, v7, vcc_lo
	global_store_b64 v[6:7], v[4:5], off
.LBB6_71:                               ;   in Loop: Header=BB6_4 Depth=1
	s_wait_alu 0xfffe
	s_or_b32 exec_lo, exec_lo, s7
	s_and_saveexec_b32 s27, s2
	s_cbranch_execz .LBB6_2
.LBB6_72:                               ;   in Loop: Header=BB6_4 Depth=1
	s_mul_u64 s[34:35], s[20:21], s[24:25]
	s_and_b32 vcc_lo, exec_lo, s45
	s_mov_b32 s7, -1
	s_wait_alu 0xfffe
	s_cbranch_vccz .LBB6_77
; %bb.73:                               ;   in Loop: Header=BB6_4 Depth=1
	s_and_saveexec_b32 s36, s4
	s_cbranch_execz .LBB6_76
; %bb.74:                               ;   in Loop: Header=BB6_4 Depth=1
	v_add_co_u32 v4, vcc_lo, v34, s34
	s_wait_alu 0xfffd
	v_add_co_ci_u32_e64 v5, null, s35, v35, vcc_lo
	v_mov_b32_e32 v6, v20
	s_mov_b32 s37, 0
	s_mov_b32 s38, s26
.LBB6_75:                               ;   Parent Loop BB6_4 Depth=1
                                        ; =>  This Inner Loop Header: Depth=2
	ds_load_b64 v[42:43], v6
	s_wait_alu 0xfffe
	s_add_co_i32 s38, s38, -1
	v_add_nc_u32_e32 v6, s28, v6
	s_wait_alu 0xfffe
	v_cmp_le_i32_e32 vcc_lo, s38, v1
	s_or_b32 s37, vcc_lo, s37
	s_wait_dscnt 0x0
	global_store_b64 v[4:5], v[42:43], off
	v_add_co_u32 v4, s7, v4, s30
	s_wait_alu 0xf1ff
	v_add_co_ci_u32_e64 v5, null, s31, v5, s7
	s_wait_alu 0xfffe
	s_and_not1_b32 exec_lo, exec_lo, s37
	s_cbranch_execnz .LBB6_75
.LBB6_76:                               ;   in Loop: Header=BB6_4 Depth=1
	s_wait_alu 0xfffe
	s_or_b32 exec_lo, exec_lo, s36
	s_mov_b32 s7, 0
.LBB6_77:                               ;   in Loop: Header=BB6_4 Depth=1
	s_wait_alu 0xfffe
	s_and_not1_b32 vcc_lo, exec_lo, s7
	s_wait_alu 0xfffe
	s_cbranch_vccnz .LBB6_2
; %bb.78:                               ;   in Loop: Header=BB6_4 Depth=1
	s_and_b32 exec_lo, exec_lo, s5
	s_cbranch_execz .LBB6_2
; %bb.79:                               ;   in Loop: Header=BB6_4 Depth=1
	v_add_co_u32 v4, vcc_lo, v37, s34
	s_wait_alu 0xfffd
	v_add_co_ci_u32_e64 v5, null, s35, v38, vcc_lo
	v_dual_mov_b32 v6, v9 :: v_dual_mov_b32 v7, v36
	s_mov_b32 s34, 0
.LBB6_80:                               ;   Parent Loop BB6_4 Depth=1
                                        ; =>  This Inner Loop Header: Depth=2
	ds_load_b64 v[42:43], v6
	v_add_nc_u32_e32 v7, -1, v7
	v_add_nc_u32_e32 v6, s28, v6
	s_delay_alu instid0(VALU_DEP_2)
	v_cmp_eq_u32_e32 vcc_lo, 0, v7
	s_wait_alu 0xfffe
	s_or_b32 s34, vcc_lo, s34
	s_wait_dscnt 0x0
	global_store_b64 v[4:5], v[42:43], off
	v_add_co_u32 v4, s7, v4, s12
	s_wait_alu 0xf1ff
	v_add_co_ci_u32_e64 v5, null, s13, v5, s7
	s_wait_alu 0xfffe
	s_and_not1_b32 exec_lo, exec_lo, s34
	s_cbranch_execnz .LBB6_80
	s_branch .LBB6_2
.LBB6_81:
	s_endpgm
	.section	.rodata,"a",@progbits
	.p2align	6, 0x0
	.amdhsa_kernel _ZL29rocblas_trtri_diagonal_kernelILi16EdPKdPdEv13rocblas_fill_17rocblas_diagonal_iT1_lillT2_lilli
		.amdhsa_group_segment_fixed_size 8192
		.amdhsa_private_segment_fixed_size 0
		.amdhsa_kernarg_size 100
		.amdhsa_user_sgpr_count 2
		.amdhsa_user_sgpr_dispatch_ptr 0
		.amdhsa_user_sgpr_queue_ptr 0
		.amdhsa_user_sgpr_kernarg_segment_ptr 1
		.amdhsa_user_sgpr_dispatch_id 0
		.amdhsa_user_sgpr_private_segment_size 0
		.amdhsa_wavefront_size32 1
		.amdhsa_uses_dynamic_stack 0
		.amdhsa_enable_private_segment 0
		.amdhsa_system_sgpr_workgroup_id_x 1
		.amdhsa_system_sgpr_workgroup_id_y 0
		.amdhsa_system_sgpr_workgroup_id_z 1
		.amdhsa_system_sgpr_workgroup_info 0
		.amdhsa_system_vgpr_workitem_id 0
		.amdhsa_next_free_vgpr 49
		.amdhsa_next_free_sgpr 53
		.amdhsa_reserve_vcc 1
		.amdhsa_float_round_mode_32 0
		.amdhsa_float_round_mode_16_64 0
		.amdhsa_float_denorm_mode_32 3
		.amdhsa_float_denorm_mode_16_64 3
		.amdhsa_fp16_overflow 0
		.amdhsa_workgroup_processor_mode 1
		.amdhsa_memory_ordered 1
		.amdhsa_forward_progress 1
		.amdhsa_inst_pref_size 30
		.amdhsa_round_robin_scheduling 0
		.amdhsa_exception_fp_ieee_invalid_op 0
		.amdhsa_exception_fp_denorm_src 0
		.amdhsa_exception_fp_ieee_div_zero 0
		.amdhsa_exception_fp_ieee_overflow 0
		.amdhsa_exception_fp_ieee_underflow 0
		.amdhsa_exception_fp_ieee_inexact 0
		.amdhsa_exception_int_div_zero 0
	.end_amdhsa_kernel
	.section	.text._ZL29rocblas_trtri_diagonal_kernelILi16EdPKdPdEv13rocblas_fill_17rocblas_diagonal_iT1_lillT2_lilli,"axG",@progbits,_ZL29rocblas_trtri_diagonal_kernelILi16EdPKdPdEv13rocblas_fill_17rocblas_diagonal_iT1_lillT2_lilli,comdat
.Lfunc_end6:
	.size	_ZL29rocblas_trtri_diagonal_kernelILi16EdPKdPdEv13rocblas_fill_17rocblas_diagonal_iT1_lillT2_lilli, .Lfunc_end6-_ZL29rocblas_trtri_diagonal_kernelILi16EdPKdPdEv13rocblas_fill_17rocblas_diagonal_iT1_lillT2_lilli
                                        ; -- End function
	.set _ZL29rocblas_trtri_diagonal_kernelILi16EdPKdPdEv13rocblas_fill_17rocblas_diagonal_iT1_lillT2_lilli.num_vgpr, 49
	.set _ZL29rocblas_trtri_diagonal_kernelILi16EdPKdPdEv13rocblas_fill_17rocblas_diagonal_iT1_lillT2_lilli.num_agpr, 0
	.set _ZL29rocblas_trtri_diagonal_kernelILi16EdPKdPdEv13rocblas_fill_17rocblas_diagonal_iT1_lillT2_lilli.numbered_sgpr, 53
	.set _ZL29rocblas_trtri_diagonal_kernelILi16EdPKdPdEv13rocblas_fill_17rocblas_diagonal_iT1_lillT2_lilli.num_named_barrier, 0
	.set _ZL29rocblas_trtri_diagonal_kernelILi16EdPKdPdEv13rocblas_fill_17rocblas_diagonal_iT1_lillT2_lilli.private_seg_size, 0
	.set _ZL29rocblas_trtri_diagonal_kernelILi16EdPKdPdEv13rocblas_fill_17rocblas_diagonal_iT1_lillT2_lilli.uses_vcc, 1
	.set _ZL29rocblas_trtri_diagonal_kernelILi16EdPKdPdEv13rocblas_fill_17rocblas_diagonal_iT1_lillT2_lilli.uses_flat_scratch, 0
	.set _ZL29rocblas_trtri_diagonal_kernelILi16EdPKdPdEv13rocblas_fill_17rocblas_diagonal_iT1_lillT2_lilli.has_dyn_sized_stack, 0
	.set _ZL29rocblas_trtri_diagonal_kernelILi16EdPKdPdEv13rocblas_fill_17rocblas_diagonal_iT1_lillT2_lilli.has_recursion, 0
	.set _ZL29rocblas_trtri_diagonal_kernelILi16EdPKdPdEv13rocblas_fill_17rocblas_diagonal_iT1_lillT2_lilli.has_indirect_call, 0
	.section	.AMDGPU.csdata,"",@progbits
; Kernel info:
; codeLenInByte = 3732
; TotalNumSgprs: 55
; NumVgprs: 49
; ScratchSize: 0
; MemoryBound: 0
; FloatMode: 240
; IeeeMode: 1
; LDSByteSize: 8192 bytes/workgroup (compile time only)
; SGPRBlocks: 0
; VGPRBlocks: 6
; NumSGPRsForWavesPerEU: 55
; NumVGPRsForWavesPerEU: 49
; Occupancy: 16
; WaveLimiterHint : 0
; COMPUTE_PGM_RSRC2:SCRATCH_EN: 0
; COMPUTE_PGM_RSRC2:USER_SGPR: 2
; COMPUTE_PGM_RSRC2:TRAP_HANDLER: 0
; COMPUTE_PGM_RSRC2:TGID_X_EN: 1
; COMPUTE_PGM_RSRC2:TGID_Y_EN: 0
; COMPUTE_PGM_RSRC2:TGID_Z_EN: 1
; COMPUTE_PGM_RSRC2:TIDIG_COMP_CNT: 0
	.section	.text._ZL30rocblas_trtri_remainder_kernelILi16EdPKdPdEv13rocblas_fill_17rocblas_diagonal_iT1_lillT2_lilli,"axG",@progbits,_ZL30rocblas_trtri_remainder_kernelILi16EdPKdPdEv13rocblas_fill_17rocblas_diagonal_iT1_lillT2_lilli,comdat
	.globl	_ZL30rocblas_trtri_remainder_kernelILi16EdPKdPdEv13rocblas_fill_17rocblas_diagonal_iT1_lillT2_lilli ; -- Begin function _ZL30rocblas_trtri_remainder_kernelILi16EdPKdPdEv13rocblas_fill_17rocblas_diagonal_iT1_lillT2_lilli
	.p2align	8
	.type	_ZL30rocblas_trtri_remainder_kernelILi16EdPKdPdEv13rocblas_fill_17rocblas_diagonal_iT1_lillT2_lilli,@function
_ZL30rocblas_trtri_remainder_kernelILi16EdPKdPdEv13rocblas_fill_17rocblas_diagonal_iT1_lillT2_lilli: ; @_ZL30rocblas_trtri_remainder_kernelILi16EdPKdPdEv13rocblas_fill_17rocblas_diagonal_iT1_lillT2_lilli
; %bb.0:
	s_load_b32 s23, s[0:1], 0x60
	s_lshr_b32 s2, ttmp7, 16
	s_wait_kmcnt 0x0
	s_cmp_ge_u32 s2, s23
	s_cbranch_scc1 .LBB7_38
; %bb.1:
	s_clause 0x5
	s_load_b32 s28, s[0:1], 0x20
	s_load_b32 s30, s[0:1], 0x48
	s_load_b96 s[20:22], s[0:1], 0x0
	s_load_b256 s[4:11], s[0:1], 0x28
	s_load_b128 s[16:19], s[0:1], 0x10
	s_load_b128 s[12:15], s[0:1], 0x50
	s_mov_b32 s3, 0
	s_mov_b32 s26, ttmp9
	s_mov_b32 s27, s3
	s_mov_b32 s35, s3
	v_lshlrev_b32_e32 v5, 3, v0
	v_add_nc_u32_e32 v10, 1, v0
	s_wait_kmcnt 0x0
	s_ashr_i32 s29, s28, 31
	s_ashr_i32 s31, s30, 31
	s_cmp_gt_i32 s22, 0
	s_mul_u64 s[6:7], s[6:7], s[26:27]
	s_cselect_b32 s24, -1, 0
	s_cmp_lg_u32 s20, 0x7a
	s_mul_u64 s[14:15], s[14:15], s[26:27]
	s_cselect_b32 s20, -1, 0
	s_add_co_i32 s34, s22, -1
	s_cmp_lg_u32 s21, 0x84
	s_mul_u64 s[36:37], s[28:29], s[34:35]
	s_cselect_b32 s21, -1, 0
	s_lshl_b64 s[6:7], s[6:7], 3
	s_lshl_b64 s[18:19], s[18:19], 3
	;; [unrolled: 1-line block ×3, first 2 shown]
	s_add_nc_u64 s[38:39], s[6:7], s[18:19]
	s_lshl_b64 s[14:15], s[14:15], 3
	s_add_nc_u64 s[6:7], s[38:39], s[36:37]
	s_lshl_b64 s[10:11], s[10:11], 3
	s_add_nc_u64 s[6:7], s[16:17], s[6:7]
	s_add_nc_u64 s[16:17], s[16:17], s[38:39]
	v_add_co_u32 v8, s1, s6, v5
	s_delay_alu instid0(VALU_DEP_1)
	v_add_co_ci_u32_e64 v9, null, s7, 0, s1
	v_add_co_u32 v11, s1, s16, v5
	s_wait_alu 0xf1ff
	v_add_co_ci_u32_e64 v12, null, s17, 0, s1
	s_mul_u64 s[16:17], s[30:31], s[34:35]
	s_add_nc_u64 s[10:11], s[14:15], s[10:11]
	s_wait_alu 0xfffe
	s_lshl_b64 s[26:27], s[16:17], 3
	v_mul_lo_u32 v1, v0, s22
	s_add_nc_u64 s[14:15], s[10:11], s[26:27]
	v_sub_nc_u32_e32 v2, s34, v0
	s_add_nc_u64 s[14:15], s[8:9], s[14:15]
	s_add_nc_u64 s[8:9], s[8:9], s[10:11]
	v_add_co_u32 v14, s1, s14, v5
	s_lshl_b32 s25, s22, 3
	v_add_co_ci_u32_e64 v15, null, s15, 0, s1
	v_add_co_u32 v16, s1, s8, v5
	v_cmp_gt_u32_e64 s0, s22, v0
	v_add_lshl_u32 v6, v1, v0, 3
	v_lshlrev_b32_e32 v7, 3, v2
	v_add_nc_u32_e32 v13, s25, v5
	s_wait_alu 0xf1ff
	v_add_co_ci_u32_e64 v17, null, s9, 0, s1
	s_lshl_b64 s[6:7], s[28:29], 3
	s_lshl_b64 s[8:9], s[30:31], 3
	s_lshl_b64 s[4:5], s[4:5], 3
	s_wait_alu 0xfffe
	s_sub_nc_u64 s[18:19], 0, s[6:7]
	s_add_co_i32 s16, s25, 8
	s_lshl_b64 s[10:11], s[12:13], 3
	s_sub_nc_u64 s[12:13], 0, s[8:9]
	s_branch .LBB7_4
.LBB7_2:                                ;   in Loop: Header=BB7_4 Depth=1
	s_wait_alu 0xfffe
	s_or_b32 exec_lo, exec_lo, s17
.LBB7_3:                                ;   in Loop: Header=BB7_4 Depth=1
	s_add_co_i32 s2, s2, 0x10000
	s_delay_alu instid0(SALU_CYCLE_1)
	s_cmp_lt_u32 s2, s23
	s_cbranch_scc0 .LBB7_38
.LBB7_4:                                ; =>This Loop Header: Depth=1
                                        ;     Child Loop BB7_8 Depth 2
                                        ;     Child Loop BB7_12 Depth 2
	;; [unrolled: 1-line block ×3, first 2 shown]
                                        ;       Child Loop BB7_26 Depth 3
                                        ;     Child Loop BB7_33 Depth 2
                                        ;     Child Loop BB7_37 Depth 2
	s_and_not1_b32 vcc_lo, exec_lo, s24
	s_wait_alu 0xfffe
	s_cbranch_vccnz .LBB7_3
; %bb.5:                                ;   in Loop: Header=BB7_4 Depth=1
	s_and_saveexec_b32 s17, s0
	s_cbranch_execz .LBB7_13
; %bb.6:                                ;   in Loop: Header=BB7_4 Depth=1
	s_mul_u64 s[14:15], s[4:5], s[2:3]
	s_and_not1_b32 vcc_lo, exec_lo, s20
	s_mov_b32 s1, -1
	s_wait_alu 0xfffe
	s_cbranch_vccnz .LBB7_10
; %bb.7:                                ;   in Loop: Header=BB7_4 Depth=1
	v_add_co_u32 v1, vcc_lo, v8, s14
	s_wait_alu 0xfffd
	v_add_co_ci_u32_e64 v2, null, s15, v9, vcc_lo
	v_mov_b32_e32 v3, v7
	s_mov_b32 s26, 0
	s_mov_b32 s27, s22
.LBB7_8:                                ;   Parent Loop BB7_4 Depth=1
                                        ; =>  This Inner Loop Header: Depth=2
	global_load_b64 v[18:19], v[1:2], off
	s_wait_alu 0xfffe
	s_add_co_i32 s27, s27, -1
	v_add_co_u32 v1, vcc_lo, v1, s18
	s_wait_alu 0xfffe
	v_cmp_le_u32_e64 s1, s27, v0
	s_wait_alu 0xfffd
	v_add_co_ci_u32_e64 v2, null, s19, v2, vcc_lo
	s_or_b32 s26, s1, s26
	s_wait_loadcnt 0x0
	ds_store_b64 v3, v[18:19]
	v_add_nc_u32_e32 v3, s25, v3
	s_wait_alu 0xfffe
	s_and_not1_b32 exec_lo, exec_lo, s26
	s_cbranch_execnz .LBB7_8
; %bb.9:                                ;   in Loop: Header=BB7_4 Depth=1
	s_or_b32 exec_lo, exec_lo, s26
	s_mov_b32 s1, 0
.LBB7_10:                               ;   in Loop: Header=BB7_4 Depth=1
	s_wait_alu 0xfffe
	s_and_b32 vcc_lo, exec_lo, s1
	s_wait_alu 0xfffe
	s_cbranch_vccz .LBB7_13
; %bb.11:                               ;   in Loop: Header=BB7_4 Depth=1
	v_add_co_u32 v1, vcc_lo, v11, s14
	s_wait_alu 0xfffd
	v_add_co_ci_u32_e64 v2, null, s15, v12, vcc_lo
	v_dual_mov_b32 v3, v5 :: v_dual_mov_b32 v4, v10
	s_mov_b32 s14, 0
.LBB7_12:                               ;   Parent Loop BB7_4 Depth=1
                                        ; =>  This Inner Loop Header: Depth=2
	global_load_b64 v[18:19], v[1:2], off
	v_add_nc_u32_e32 v4, -1, v4
	v_add_co_u32 v1, vcc_lo, v1, s6
	s_wait_alu 0xfffd
	v_add_co_ci_u32_e64 v2, null, s7, v2, vcc_lo
	s_delay_alu instid0(VALU_DEP_3)
	v_cmp_eq_u32_e64 s1, 0, v4
	s_wait_alu 0xfffe
	s_or_b32 s14, s1, s14
	s_wait_loadcnt 0x0
	ds_store_b64 v3, v[18:19]
	v_add_nc_u32_e32 v3, s25, v3
	s_wait_alu 0xfffe
	s_and_not1_b32 exec_lo, exec_lo, s14
	s_cbranch_execnz .LBB7_12
.LBB7_13:                               ;   in Loop: Header=BB7_4 Depth=1
	s_wait_alu 0xfffe
	s_or_b32 exec_lo, exec_lo, s17
	s_wait_dscnt 0x0
	s_barrier_signal -1
	s_barrier_wait -1
	global_inv scope:SCOPE_SE
	s_and_saveexec_b32 s1, s0
	s_cbranch_execz .LBB7_19
; %bb.14:                               ;   in Loop: Header=BB7_4 Depth=1
	v_mov_b32_e32 v3, 0
	v_mov_b32_e32 v4, 0x3ff00000
	s_and_not1_b32 vcc_lo, exec_lo, s21
	s_wait_alu 0xfffe
	s_cbranch_vccnz .LBB7_18
; %bb.15:                               ;   in Loop: Header=BB7_4 Depth=1
	ds_load_b64 v[1:2], v6
	v_mov_b32_e32 v3, 0
	v_mov_b32_e32 v4, 0x3ff00000
	s_mov_b32 s14, exec_lo
	s_wait_dscnt 0x0
	v_cmpx_neq_f64_e32 0, v[1:2]
	s_cbranch_execz .LBB7_17
; %bb.16:                               ;   in Loop: Header=BB7_4 Depth=1
	v_div_scale_f64 v[3:4], null, v[1:2], v[1:2], 1.0
	s_delay_alu instid0(VALU_DEP_1) | instskip(NEXT) | instid1(TRANS32_DEP_1)
	v_rcp_f64_e32 v[18:19], v[3:4]
	v_fma_f64 v[20:21], -v[3:4], v[18:19], 1.0
	s_delay_alu instid0(VALU_DEP_1) | instskip(NEXT) | instid1(VALU_DEP_1)
	v_fma_f64 v[18:19], v[18:19], v[20:21], v[18:19]
	v_fma_f64 v[20:21], -v[3:4], v[18:19], 1.0
	s_delay_alu instid0(VALU_DEP_1) | instskip(SKIP_1) | instid1(VALU_DEP_1)
	v_fma_f64 v[18:19], v[18:19], v[20:21], v[18:19]
	v_div_scale_f64 v[20:21], vcc_lo, 1.0, v[1:2], 1.0
	v_mul_f64_e32 v[22:23], v[20:21], v[18:19]
	s_delay_alu instid0(VALU_DEP_1) | instskip(SKIP_1) | instid1(VALU_DEP_1)
	v_fma_f64 v[3:4], -v[3:4], v[22:23], v[20:21]
	s_wait_alu 0xfffd
	v_div_fmas_f64 v[3:4], v[3:4], v[18:19], v[22:23]
	s_delay_alu instid0(VALU_DEP_1)
	v_div_fixup_f64 v[3:4], v[3:4], v[1:2], 1.0
.LBB7_17:                               ;   in Loop: Header=BB7_4 Depth=1
	s_wait_alu 0xfffe
	s_or_b32 exec_lo, exec_lo, s14
.LBB7_18:                               ;   in Loop: Header=BB7_4 Depth=1
	ds_store_b64 v6, v[3:4]
.LBB7_19:                               ;   in Loop: Header=BB7_4 Depth=1
	s_wait_alu 0xfffe
	s_or_b32 exec_lo, exec_lo, s1
	v_mov_b32_e32 v3, v13
	s_mov_b32 s1, 0
	s_mov_b32 s14, 8
	s_wait_loadcnt_dscnt 0x0
	s_barrier_signal -1
	s_barrier_wait -1
	global_inv scope:SCOPE_SE
	s_branch .LBB7_21
.LBB7_20:                               ;   in Loop: Header=BB7_21 Depth=2
	v_add_nc_u32_e32 v3, s25, v3
	s_add_co_i32 s14, s14, s16
	s_cmp_eq_u32 s1, s22
	s_wait_loadcnt 0x0
	s_barrier_signal -1
	s_barrier_wait -1
	global_inv scope:SCOPE_SE
	s_cbranch_scc1 .LBB7_30
.LBB7_21:                               ;   Parent Loop BB7_4 Depth=1
                                        ; =>  This Loop Header: Depth=2
                                        ;       Child Loop BB7_26 Depth 3
	v_mov_b32_e32 v1, 0
	v_mov_b32_e32 v2, 0
	s_wait_alu 0xfffe
	s_mul_i32 s15, s1, s22
	s_mov_b32 s17, exec_lo
	v_cmpx_lt_u32_e64 s1, v0
	s_cbranch_execz .LBB7_23
; %bb.22:                               ;   in Loop: Header=BB7_21 Depth=2
	s_lshl_b32 s26, s1, 3
	s_wait_alu 0xfffe
	s_lshl_b32 s27, s15, 3
	s_wait_alu 0xfffe
	s_add_co_i32 s26, s26, s27
	s_wait_alu 0xfffe
	v_dual_mov_b32 v4, s26 :: v_dual_add_nc_u32 v1, s27, v5
	ds_load_b64 v[1:2], v1
	ds_load_b64 v[18:19], v4
	s_wait_dscnt 0x0
	v_fma_f64 v[1:2], v[1:2], v[18:19], 0
.LBB7_23:                               ;   in Loop: Header=BB7_21 Depth=2
	s_wait_alu 0xfffe
	s_or_b32 exec_lo, exec_lo, s17
	s_add_co_i32 s1, s1, 1
	s_wait_loadcnt 0x0
	s_wait_alu 0xfffe
	s_cmp_ge_i32 s1, s22
	s_barrier_signal -1
	s_barrier_wait -1
	global_inv scope:SCOPE_SE
	s_cbranch_scc1 .LBB7_20
; %bb.24:                               ;   in Loop: Header=BB7_21 Depth=2
	v_lshl_add_u32 v4, s15, 3, v5
	v_mov_b32_e32 v18, v3
	s_mov_b32 s15, s14
	s_mov_b32 s17, s1
	s_branch .LBB7_26
.LBB7_25:                               ;   in Loop: Header=BB7_26 Depth=3
	s_wait_alu 0xfffe
	s_or_b32 exec_lo, exec_lo, s26
	v_add_nc_u32_e32 v18, s25, v18
	s_add_co_i32 s17, s17, 1
	s_add_co_i32 s15, s15, 8
	s_wait_alu 0xfffe
	s_cmp_eq_u32 s22, s17
	s_wait_loadcnt 0x0
	s_barrier_signal -1
	s_barrier_wait -1
	global_inv scope:SCOPE_SE
	s_cbranch_scc1 .LBB7_20
.LBB7_26:                               ;   Parent Loop BB7_4 Depth=1
                                        ;     Parent Loop BB7_21 Depth=2
                                        ; =>    This Inner Loop Header: Depth=3
	s_mov_b32 s26, exec_lo
	s_wait_alu 0xfffe
	v_cmpx_eq_u32_e64 s17, v0
	s_cbranch_execz .LBB7_28
; %bb.27:                               ;   in Loop: Header=BB7_26 Depth=3
	v_add_f64_e64 v[19:20], -v[1:2], 0
	ds_load_b64 v[21:22], v6
	s_wait_dscnt 0x0
	v_mul_f64_e32 v[19:20], v[19:20], v[21:22]
	ds_store_b64 v4, v[19:20]
.LBB7_28:                               ;   in Loop: Header=BB7_26 Depth=3
	s_or_b32 exec_lo, exec_lo, s26
	s_delay_alu instid0(SALU_CYCLE_1)
	s_mov_b32 s26, exec_lo
	s_wait_loadcnt_dscnt 0x0
	s_barrier_signal -1
	s_barrier_wait -1
	global_inv scope:SCOPE_SE
	v_cmpx_lt_u32_e64 s17, v0
	s_cbranch_execz .LBB7_25
; %bb.29:                               ;   in Loop: Header=BB7_26 Depth=3
	v_mov_b32_e32 v21, s15
	ds_load_b64 v[19:20], v18
	ds_load_b64 v[21:22], v21
	s_wait_dscnt 0x0
	v_fma_f64 v[1:2], v[19:20], v[21:22], v[1:2]
	s_branch .LBB7_25
.LBB7_30:                               ;   in Loop: Header=BB7_4 Depth=1
	s_and_saveexec_b32 s17, s0
	s_cbranch_execz .LBB7_2
; %bb.31:                               ;   in Loop: Header=BB7_4 Depth=1
	s_mul_u64 s[14:15], s[10:11], s[2:3]
	s_and_not1_b32 vcc_lo, exec_lo, s20
	s_mov_b32 s1, -1
	s_wait_alu 0xfffe
	s_cbranch_vccnz .LBB7_35
; %bb.32:                               ;   in Loop: Header=BB7_4 Depth=1
	v_add_co_u32 v1, vcc_lo, v14, s14
	s_wait_alu 0xfffd
	v_add_co_ci_u32_e64 v2, null, s15, v15, vcc_lo
	v_mov_b32_e32 v3, v7
	s_mov_b32 s26, 0
	s_mov_b32 s27, s22
.LBB7_33:                               ;   Parent Loop BB7_4 Depth=1
                                        ; =>  This Inner Loop Header: Depth=2
	ds_load_b64 v[18:19], v3
	s_wait_alu 0xfffe
	s_add_co_i32 s27, s27, -1
	v_add_nc_u32_e32 v3, s25, v3
	s_wait_alu 0xfffe
	v_cmp_le_u32_e32 vcc_lo, s27, v0
	s_or_b32 s26, vcc_lo, s26
	s_wait_dscnt 0x0
	global_store_b64 v[1:2], v[18:19], off
	v_add_co_u32 v1, s1, v1, s12
	s_wait_alu 0xf1ff
	v_add_co_ci_u32_e64 v2, null, s13, v2, s1
	s_wait_alu 0xfffe
	s_and_not1_b32 exec_lo, exec_lo, s26
	s_cbranch_execnz .LBB7_33
; %bb.34:                               ;   in Loop: Header=BB7_4 Depth=1
	s_or_b32 exec_lo, exec_lo, s26
	s_mov_b32 s1, 0
.LBB7_35:                               ;   in Loop: Header=BB7_4 Depth=1
	s_wait_alu 0xfffe
	s_and_b32 vcc_lo, exec_lo, s1
	s_wait_alu 0xfffe
	s_cbranch_vccz .LBB7_2
; %bb.36:                               ;   in Loop: Header=BB7_4 Depth=1
	v_add_co_u32 v1, vcc_lo, v16, s14
	s_wait_alu 0xfffd
	v_add_co_ci_u32_e64 v2, null, s15, v17, vcc_lo
	v_dual_mov_b32 v3, v5 :: v_dual_mov_b32 v4, v10
	s_mov_b32 s14, 0
.LBB7_37:                               ;   Parent Loop BB7_4 Depth=1
                                        ; =>  This Inner Loop Header: Depth=2
	ds_load_b64 v[18:19], v3
	v_add_nc_u32_e32 v4, -1, v4
	v_add_nc_u32_e32 v3, s25, v3
	s_delay_alu instid0(VALU_DEP_2)
	v_cmp_eq_u32_e32 vcc_lo, 0, v4
	s_wait_alu 0xfffe
	s_or_b32 s14, vcc_lo, s14
	s_wait_dscnt 0x0
	global_store_b64 v[1:2], v[18:19], off
	v_add_co_u32 v1, s1, v1, s8
	s_wait_alu 0xf1ff
	v_add_co_ci_u32_e64 v2, null, s9, v2, s1
	s_wait_alu 0xfffe
	s_and_not1_b32 exec_lo, exec_lo, s14
	s_cbranch_execnz .LBB7_37
	s_branch .LBB7_2
.LBB7_38:
	s_endpgm
	.section	.rodata,"a",@progbits
	.p2align	6, 0x0
	.amdhsa_kernel _ZL30rocblas_trtri_remainder_kernelILi16EdPKdPdEv13rocblas_fill_17rocblas_diagonal_iT1_lillT2_lilli
		.amdhsa_group_segment_fixed_size 8192
		.amdhsa_private_segment_fixed_size 0
		.amdhsa_kernarg_size 100
		.amdhsa_user_sgpr_count 2
		.amdhsa_user_sgpr_dispatch_ptr 0
		.amdhsa_user_sgpr_queue_ptr 0
		.amdhsa_user_sgpr_kernarg_segment_ptr 1
		.amdhsa_user_sgpr_dispatch_id 0
		.amdhsa_user_sgpr_private_segment_size 0
		.amdhsa_wavefront_size32 1
		.amdhsa_uses_dynamic_stack 0
		.amdhsa_enable_private_segment 0
		.amdhsa_system_sgpr_workgroup_id_x 1
		.amdhsa_system_sgpr_workgroup_id_y 0
		.amdhsa_system_sgpr_workgroup_id_z 1
		.amdhsa_system_sgpr_workgroup_info 0
		.amdhsa_system_vgpr_workitem_id 0
		.amdhsa_next_free_vgpr 24
		.amdhsa_next_free_sgpr 40
		.amdhsa_reserve_vcc 1
		.amdhsa_float_round_mode_32 0
		.amdhsa_float_round_mode_16_64 0
		.amdhsa_float_denorm_mode_32 3
		.amdhsa_float_denorm_mode_16_64 3
		.amdhsa_fp16_overflow 0
		.amdhsa_workgroup_processor_mode 1
		.amdhsa_memory_ordered 1
		.amdhsa_forward_progress 1
		.amdhsa_inst_pref_size 13
		.amdhsa_round_robin_scheduling 0
		.amdhsa_exception_fp_ieee_invalid_op 0
		.amdhsa_exception_fp_denorm_src 0
		.amdhsa_exception_fp_ieee_div_zero 0
		.amdhsa_exception_fp_ieee_overflow 0
		.amdhsa_exception_fp_ieee_underflow 0
		.amdhsa_exception_fp_ieee_inexact 0
		.amdhsa_exception_int_div_zero 0
	.end_amdhsa_kernel
	.section	.text._ZL30rocblas_trtri_remainder_kernelILi16EdPKdPdEv13rocblas_fill_17rocblas_diagonal_iT1_lillT2_lilli,"axG",@progbits,_ZL30rocblas_trtri_remainder_kernelILi16EdPKdPdEv13rocblas_fill_17rocblas_diagonal_iT1_lillT2_lilli,comdat
.Lfunc_end7:
	.size	_ZL30rocblas_trtri_remainder_kernelILi16EdPKdPdEv13rocblas_fill_17rocblas_diagonal_iT1_lillT2_lilli, .Lfunc_end7-_ZL30rocblas_trtri_remainder_kernelILi16EdPKdPdEv13rocblas_fill_17rocblas_diagonal_iT1_lillT2_lilli
                                        ; -- End function
	.set _ZL30rocblas_trtri_remainder_kernelILi16EdPKdPdEv13rocblas_fill_17rocblas_diagonal_iT1_lillT2_lilli.num_vgpr, 24
	.set _ZL30rocblas_trtri_remainder_kernelILi16EdPKdPdEv13rocblas_fill_17rocblas_diagonal_iT1_lillT2_lilli.num_agpr, 0
	.set _ZL30rocblas_trtri_remainder_kernelILi16EdPKdPdEv13rocblas_fill_17rocblas_diagonal_iT1_lillT2_lilli.numbered_sgpr, 40
	.set _ZL30rocblas_trtri_remainder_kernelILi16EdPKdPdEv13rocblas_fill_17rocblas_diagonal_iT1_lillT2_lilli.num_named_barrier, 0
	.set _ZL30rocblas_trtri_remainder_kernelILi16EdPKdPdEv13rocblas_fill_17rocblas_diagonal_iT1_lillT2_lilli.private_seg_size, 0
	.set _ZL30rocblas_trtri_remainder_kernelILi16EdPKdPdEv13rocblas_fill_17rocblas_diagonal_iT1_lillT2_lilli.uses_vcc, 1
	.set _ZL30rocblas_trtri_remainder_kernelILi16EdPKdPdEv13rocblas_fill_17rocblas_diagonal_iT1_lillT2_lilli.uses_flat_scratch, 0
	.set _ZL30rocblas_trtri_remainder_kernelILi16EdPKdPdEv13rocblas_fill_17rocblas_diagonal_iT1_lillT2_lilli.has_dyn_sized_stack, 0
	.set _ZL30rocblas_trtri_remainder_kernelILi16EdPKdPdEv13rocblas_fill_17rocblas_diagonal_iT1_lillT2_lilli.has_recursion, 0
	.set _ZL30rocblas_trtri_remainder_kernelILi16EdPKdPdEv13rocblas_fill_17rocblas_diagonal_iT1_lillT2_lilli.has_indirect_call, 0
	.section	.AMDGPU.csdata,"",@progbits
; Kernel info:
; codeLenInByte = 1648
; TotalNumSgprs: 42
; NumVgprs: 24
; ScratchSize: 0
; MemoryBound: 0
; FloatMode: 240
; IeeeMode: 1
; LDSByteSize: 8192 bytes/workgroup (compile time only)
; SGPRBlocks: 0
; VGPRBlocks: 2
; NumSGPRsForWavesPerEU: 42
; NumVGPRsForWavesPerEU: 24
; Occupancy: 16
; WaveLimiterHint : 0
; COMPUTE_PGM_RSRC2:SCRATCH_EN: 0
; COMPUTE_PGM_RSRC2:USER_SGPR: 2
; COMPUTE_PGM_RSRC2:TRAP_HANDLER: 0
; COMPUTE_PGM_RSRC2:TGID_X_EN: 1
; COMPUTE_PGM_RSRC2:TGID_Y_EN: 0
; COMPUTE_PGM_RSRC2:TGID_Z_EN: 1
; COMPUTE_PGM_RSRC2:TIDIG_COMP_CNT: 0
	.section	.text._ZL18rocblas_trtri_fillILi128E19rocblas_complex_numIfEPS1_EvP15_rocblas_handle13rocblas_fill_ililT1_llii,"axG",@progbits,_ZL18rocblas_trtri_fillILi128E19rocblas_complex_numIfEPS1_EvP15_rocblas_handle13rocblas_fill_ililT1_llii,comdat
	.globl	_ZL18rocblas_trtri_fillILi128E19rocblas_complex_numIfEPS1_EvP15_rocblas_handle13rocblas_fill_ililT1_llii ; -- Begin function _ZL18rocblas_trtri_fillILi128E19rocblas_complex_numIfEPS1_EvP15_rocblas_handle13rocblas_fill_ililT1_llii
	.p2align	8
	.type	_ZL18rocblas_trtri_fillILi128E19rocblas_complex_numIfEPS1_EvP15_rocblas_handle13rocblas_fill_ililT1_llii,@function
_ZL18rocblas_trtri_fillILi128E19rocblas_complex_numIfEPS1_EvP15_rocblas_handle13rocblas_fill_ililT1_llii: ; @_ZL18rocblas_trtri_fillILi128E19rocblas_complex_numIfEPS1_EvP15_rocblas_handle13rocblas_fill_ililT1_llii
; %bb.0:
	s_load_b64 s[2:3], s[0:1], 0x40
	s_lshr_b32 s16, ttmp7, 16
	s_wait_kmcnt 0x0
	s_cmp_ge_u32 s16, s3
	s_cbranch_scc1 .LBB8_19
; %bb.1:
	s_clause 0x2
	s_load_b128 s[12:15], s[0:1], 0x8
	s_load_b32 s20, s[0:1], 0x18
	s_load_b256 s[4:11], s[0:1], 0x20
	s_ashr_i32 s23, s2, 31
	s_mov_b32 s22, s2
	s_mov_b32 s18, ttmp9
	s_add_nc_u64 s[30:31], s[0:1], 0x48
	s_wait_kmcnt 0x0
	v_cvt_f32_u32_e32 v1, s14
	s_add_co_i32 s17, s13, -2
	s_cvt_f32_u32 s19, s15
	s_lshl_b64 s[26:27], s[8:9], 3
	s_sub_co_i32 s8, 0, s14
	v_rcp_iflag_f32_e32 v3, v1
	v_cvt_f64_i32_e32 v[1:2], s17
	s_cvt_f32_u32 s17, s14
	s_ashr_i32 s9, s13, 31
	s_add_co_i32 s28, s13, -1
	s_mul_u64 s[22:23], s[14:15], s[22:23]
	s_wait_alu 0xfffe
	s_fmamk_f32 s2, s19, 0x4f800000, s17
	s_mov_b32 s19, 0
	s_ashr_i32 s29, s28, 31
	s_lshl_b64 s[24:25], s[18:19], 7
	v_mul_f32_e32 v4, 0x4f7ffffe, v3
	v_s_rcp_f32 s2, s2
	v_or_b32_e32 v3, s24, v0
	s_add_nc_u64 s[6:7], s[6:7], s[26:27]
	s_ashr_i32 s21, s20, 31
	v_cvt_u32_f32_e32 v0, v4
	v_mov_b32_e32 v4, s25
	s_sub_nc_u64 s[34:35], 0, s[14:15]
	s_mul_f32 s17, s2, 0x5f7ffffc
	s_delay_alu instid0(VALU_DEP_2) | instskip(SKIP_4) | instid1(SALU_CYCLE_1)
	v_mul_lo_u32 v5, s8, v0
	s_mov_b32 s8, s13
	s_wait_alu 0xfffe
	s_mul_f32 s2, s17, 0x2f800000
	s_mul_u64 s[28:29], s[28:29], s[8:9]
	s_lshl_b64 s[24:25], s[28:29], 2
	s_wait_alu 0xfffe
	s_trunc_f32 s13, s2
	v_cmp_gt_u64_e64 s2, s[22:23], v[3:4]
	v_mul_hi_u32 v6, v0, v5
	v_mov_b32_e32 v5, 0
	s_fmamk_f32 s17, s13, 0xcf800000, s17
	s_lshr_b64 s[26:27], s[28:29], 1
	s_cvt_u32_f32 s29, s13
	s_add_nc_u64 s[24:25], s[24:25], -7
	s_wait_alu 0xfffe
	s_cvt_u32_f32 s28, s17
	v_add_nc_u32_e32 v0, v0, v6
	s_branch .LBB8_3
.LBB8_2:                                ;   in Loop: Header=BB8_3 Depth=1
	s_wait_alu 0xfffe
	s_or_b32 exec_lo, exec_lo, s1
	s_add_co_i32 s16, s16, 0x10000
	s_wait_alu 0xfffe
	s_cmp_lt_u32 s16, s3
	s_cbranch_scc0 .LBB8_19
.LBB8_3:                                ; =>This Loop Header: Depth=1
                                        ;     Child Loop BB8_6 Depth 2
	s_and_saveexec_b32 s1, s2
	s_cbranch_execz .LBB8_2
; %bb.4:                                ;   in Loop: Header=BB8_3 Depth=1
	s_clause 0x1
	s_load_b32 s0, s[30:31], 0xc
	s_load_b32 s18, s[30:31], 0x0
	s_mov_b32 s17, s19
	v_dual_mov_b32 v8, v4 :: v_dual_mov_b32 v7, v3
	s_wait_alu 0xfffe
	s_mul_u64 s[38:39], s[10:11], s[16:17]
	s_mov_b32 s37, s19
	s_wait_alu 0xfffe
	s_lshl_b64 s[38:39], s[38:39], 3
	s_mov_b32 s13, 0
	s_wait_alu 0xfffe
	s_add_nc_u64 s[38:39], s[6:7], s[38:39]
	s_wait_kmcnt 0x0
	s_and_b32 s36, s0, 0xffff
	s_wait_alu 0xfffe
	s_mul_u64 s[36:37], s[36:37], s[18:19]
	s_branch .LBB8_6
.LBB8_5:                                ;   in Loop: Header=BB8_6 Depth=2
	v_add_co_u32 v7, vcc_lo, v7, s36
	s_wait_alu 0xfffd
	v_add_co_ci_u32_e64 v8, null, s37, v8, vcc_lo
	s_delay_alu instid0(VALU_DEP_1) | instskip(SKIP_1) | instid1(SALU_CYCLE_1)
	v_cmp_le_u64_e32 vcc_lo, s[22:23], v[7:8]
	s_or_b32 s13, vcc_lo, s13
	s_and_not1_b32 exec_lo, exec_lo, s13
	s_cbranch_execz .LBB8_2
.LBB8_6:                                ;   Parent Loop BB8_3 Depth=1
                                        ; =>  This Inner Loop Header: Depth=2
	v_or_b32_e32 v6, s15, v8
                                        ; implicit-def: $vgpr9_vgpr10
	s_mov_b32 s0, exec_lo
	s_delay_alu instid0(VALU_DEP_1)
	v_cmpx_ne_u64_e32 0, v[5:6]
	s_wait_alu 0xfffe
	s_xor_b32 s17, exec_lo, s0
	s_cbranch_execz .LBB8_8
; %bb.7:                                ;   in Loop: Header=BB8_6 Depth=2
	s_mul_u64 s[40:41], s[34:35], s[28:29]
	s_delay_alu instid0(SALU_CYCLE_1)
	s_mul_hi_u32 s43, s28, s41
	s_mul_i32 s42, s28, s41
	s_mul_hi_u32 s18, s28, s40
	s_mul_hi_u32 s0, s29, s40
	s_wait_alu 0xfffe
	s_add_nc_u64 s[42:43], s[18:19], s[42:43]
	s_mul_i32 s18, s29, s40
	s_mul_hi_u32 s33, s29, s41
	s_wait_alu 0xfffe
	s_add_co_u32 s18, s42, s18
	s_add_co_ci_u32 s18, s43, s0
	s_add_co_ci_u32 s43, s33, 0
	s_mul_i32 s42, s29, s41
	s_wait_alu 0xfffe
	s_add_nc_u64 s[40:41], s[18:19], s[42:43]
	s_delay_alu instid0(SALU_CYCLE_1) | instskip(SKIP_4) | instid1(SALU_CYCLE_1)
	s_add_co_u32 s40, s28, s40
	s_cselect_b32 s0, -1, 0
	s_wait_alu 0xfffe
	s_cmp_lg_u32 s0, 0
	s_add_co_ci_u32 s41, s29, s41
	s_mul_u64 s[42:43], s[34:35], s[40:41]
	s_delay_alu instid0(SALU_CYCLE_1)
	s_mul_hi_u32 s45, s40, s43
	s_mul_i32 s44, s40, s43
	s_mul_hi_u32 s18, s40, s42
	s_mul_i32 s33, s41, s42
	s_wait_alu 0xfffe
	s_add_nc_u64 s[44:45], s[18:19], s[44:45]
	s_mul_hi_u32 s0, s41, s42
	s_mul_hi_u32 s46, s41, s43
	s_add_co_u32 s18, s44, s33
	s_wait_alu 0xfffe
	s_add_co_ci_u32 s18, s45, s0
	s_mul_i32 s42, s41, s43
	s_add_co_ci_u32 s43, s46, 0
	s_wait_alu 0xfffe
	s_add_nc_u64 s[42:43], s[18:19], s[42:43]
	s_delay_alu instid0(SALU_CYCLE_1)
	s_add_co_u32 s0, s40, s42
	s_cselect_b32 s18, -1, 0
	s_wait_alu 0xfffe
	v_mul_hi_u32 v6, v7, s0
	s_cmp_lg_u32 s18, 0
	v_mad_co_u64_u32 v[11:12], null, v8, s0, 0
	s_add_co_ci_u32 s18, s41, s43
	s_wait_alu 0xfffe
	v_mad_co_u64_u32 v[9:10], null, v7, s18, 0
	v_mad_co_u64_u32 v[13:14], null, v8, s18, 0
	s_delay_alu instid0(VALU_DEP_2) | instskip(SKIP_1) | instid1(VALU_DEP_3)
	v_add_co_u32 v6, vcc_lo, v6, v9
	s_wait_alu 0xfffd
	v_add_co_ci_u32_e64 v9, null, 0, v10, vcc_lo
	s_delay_alu instid0(VALU_DEP_2) | instskip(SKIP_1) | instid1(VALU_DEP_2)
	v_add_co_u32 v6, vcc_lo, v6, v11
	s_wait_alu 0xfffd
	v_add_co_ci_u32_e32 v6, vcc_lo, v9, v12, vcc_lo
	s_wait_alu 0xfffd
	v_add_co_ci_u32_e32 v9, vcc_lo, 0, v14, vcc_lo
	s_delay_alu instid0(VALU_DEP_2) | instskip(SKIP_1) | instid1(VALU_DEP_2)
	v_add_co_u32 v6, vcc_lo, v6, v13
	s_wait_alu 0xfffd
	v_add_co_ci_u32_e64 v11, null, 0, v9, vcc_lo
	s_delay_alu instid0(VALU_DEP_2) | instskip(SKIP_1) | instid1(VALU_DEP_3)
	v_mul_lo_u32 v12, s15, v6
	v_mad_co_u64_u32 v[9:10], null, s14, v6, 0
	v_mul_lo_u32 v13, s14, v11
	s_delay_alu instid0(VALU_DEP_2) | instskip(NEXT) | instid1(VALU_DEP_2)
	v_sub_co_u32 v9, vcc_lo, v7, v9
	v_add3_u32 v10, v10, v13, v12
	v_add_co_u32 v13, s0, v6, 2
	s_wait_alu 0xf1ff
	v_add_co_ci_u32_e64 v14, null, 0, v11, s0
	s_delay_alu instid0(VALU_DEP_3) | instskip(SKIP_3) | instid1(VALU_DEP_3)
	v_sub_nc_u32_e32 v12, v8, v10
	v_sub_co_u32 v15, s0, v9, s14
	s_wait_alu 0xfffd
	v_sub_co_ci_u32_e64 v10, null, v8, v10, vcc_lo
	v_subrev_co_ci_u32_e64 v12, null, s15, v12, vcc_lo
	s_delay_alu instid0(VALU_DEP_3) | instskip(SKIP_1) | instid1(VALU_DEP_2)
	v_cmp_le_u32_e32 vcc_lo, s14, v15
	s_wait_alu 0xf1ff
	v_subrev_co_ci_u32_e64 v12, null, 0, v12, s0
	s_wait_alu 0xfffd
	v_cndmask_b32_e64 v15, 0, -1, vcc_lo
	v_cmp_eq_u32_e64 s0, s15, v10
	s_delay_alu instid0(VALU_DEP_3)
	v_cmp_le_u32_e32 vcc_lo, s15, v12
	s_wait_alu 0xfffd
	v_cndmask_b32_e64 v16, 0, -1, vcc_lo
	v_cmp_le_u32_e32 vcc_lo, s14, v9
	s_wait_alu 0xfffd
	v_cndmask_b32_e64 v9, 0, -1, vcc_lo
	v_cmp_le_u32_e32 vcc_lo, s15, v10
	s_wait_alu 0xfffd
	v_cndmask_b32_e64 v17, 0, -1, vcc_lo
	v_cmp_eq_u32_e32 vcc_lo, s15, v12
	s_wait_alu 0xf1ff
	s_delay_alu instid0(VALU_DEP_2)
	v_cndmask_b32_e64 v9, v17, v9, s0
	s_wait_alu 0xfffd
	v_cndmask_b32_e32 v12, v16, v15, vcc_lo
	v_add_co_u32 v15, vcc_lo, v6, 1
	s_wait_alu 0xfffd
	v_add_co_ci_u32_e64 v16, null, 0, v11, vcc_lo
	s_delay_alu instid0(VALU_DEP_3) | instskip(SKIP_2) | instid1(VALU_DEP_3)
	v_cmp_ne_u32_e32 vcc_lo, 0, v12
	s_wait_alu 0xfffd
	v_cndmask_b32_e32 v12, v15, v13, vcc_lo
	v_cndmask_b32_e32 v10, v16, v14, vcc_lo
	v_cmp_ne_u32_e32 vcc_lo, 0, v9
	s_wait_alu 0xfffd
	s_delay_alu instid0(VALU_DEP_2)
	v_dual_cndmask_b32 v9, v6, v12 :: v_dual_cndmask_b32 v10, v11, v10
.LBB8_8:                                ;   in Loop: Header=BB8_6 Depth=2
	s_wait_alu 0xfffe
	s_and_not1_saveexec_b32 s0, s17
	s_cbranch_execz .LBB8_10
; %bb.9:                                ;   in Loop: Header=BB8_6 Depth=2
	v_mul_hi_u32 v6, v7, v0
	s_delay_alu instid0(VALU_DEP_1) | instskip(NEXT) | instid1(VALU_DEP_1)
	v_mul_lo_u32 v9, v6, s14
	v_sub_nc_u32_e32 v9, v7, v9
	s_delay_alu instid0(VALU_DEP_1) | instskip(SKIP_2) | instid1(VALU_DEP_2)
	v_subrev_nc_u32_e32 v11, s14, v9
	v_cmp_le_u32_e32 vcc_lo, s14, v9
	s_wait_alu 0xfffd
	v_dual_cndmask_b32 v9, v9, v11 :: v_dual_add_nc_u32 v10, 1, v6
	s_delay_alu instid0(VALU_DEP_1) | instskip(NEXT) | instid1(VALU_DEP_2)
	v_cndmask_b32_e32 v6, v6, v10, vcc_lo
	v_cmp_le_u32_e32 vcc_lo, s14, v9
	s_delay_alu instid0(VALU_DEP_2) | instskip(SKIP_1) | instid1(VALU_DEP_1)
	v_add_nc_u32_e32 v10, 1, v6
	s_wait_alu 0xfffd
	v_dual_cndmask_b32 v9, v6, v10 :: v_dual_mov_b32 v10, v5
.LBB8_10:                               ;   in Loop: Header=BB8_6 Depth=2
	s_wait_alu 0xfffe
	s_or_b32 exec_lo, exec_lo, s0
	s_delay_alu instid0(VALU_DEP_1) | instskip(NEXT) | instid1(VALU_DEP_2)
	v_mul_lo_u32 v6, v10, s14
	v_mul_lo_u32 v13, v9, s15
	v_mad_co_u64_u32 v[11:12], null, v9, s14, 0
	s_cmp_lt_i32 s12, 0x7a
	v_add3_u32 v6, v12, v13, v6
	v_sub_co_u32 v11, vcc_lo, v7, v11
	s_wait_alu 0xfffd
	s_delay_alu instid0(VALU_DEP_2)
	v_sub_co_ci_u32_e64 v12, null, v8, v6, vcc_lo
	s_cbranch_scc1 .LBB8_13
; %bb.11:                               ;   in Loop: Header=BB8_6 Depth=2
	s_mov_b32 s0, 0
	s_cmp_eq_u32 s12, 0x7a
	s_mov_b32 s17, 0
                                        ; implicit-def: $vgpr13_vgpr14
	s_cbranch_scc0 .LBB8_14
; %bb.12:                               ;   in Loop: Header=BB8_6 Depth=2
	v_lshlrev_b64_e32 v[13:14], 3, v[11:12]
	s_mov_b32 s17, -1
	s_delay_alu instid0(VALU_DEP_1) | instskip(SKIP_1) | instid1(VALU_DEP_2)
	v_sub_co_u32 v6, vcc_lo, s24, v13
	s_wait_alu 0xfffd
	v_sub_co_ci_u32_e64 v13, null, s25, v14, vcc_lo
	s_delay_alu instid0(VALU_DEP_2) | instskip(NEXT) | instid1(VALU_DEP_2)
	v_cvt_f64_u32_e32 v[15:16], v6
	v_cvt_f64_u32_e32 v[13:14], v13
	s_delay_alu instid0(VALU_DEP_1) | instskip(NEXT) | instid1(VALU_DEP_1)
	v_ldexp_f64 v[13:14], v[13:14], 32
	v_add_f64_e32 v[13:14], v[13:14], v[15:16]
	s_delay_alu instid0(VALU_DEP_1) | instskip(SKIP_2) | instid1(VALU_DEP_1)
	v_cmp_gt_f64_e32 vcc_lo, 0x10000000, v[13:14]
	s_wait_alu 0xfffd
	v_cndmask_b32_e64 v6, 0, 0x100, vcc_lo
	v_ldexp_f64 v[13:14], v[13:14], v6
	v_cndmask_b32_e64 v6, 0, 0xffffff80, vcc_lo
	s_delay_alu instid0(VALU_DEP_2) | instskip(SKIP_1) | instid1(TRANS32_DEP_1)
	v_rsq_f64_e32 v[15:16], v[13:14]
	v_cmp_class_f64_e64 vcc_lo, v[13:14], 0x260
	v_mul_f64_e32 v[17:18], v[13:14], v[15:16]
	v_mul_f64_e32 v[15:16], 0.5, v[15:16]
	s_delay_alu instid0(VALU_DEP_1) | instskip(NEXT) | instid1(VALU_DEP_1)
	v_fma_f64 v[19:20], -v[15:16], v[17:18], 0.5
	v_fma_f64 v[17:18], v[17:18], v[19:20], v[17:18]
	v_fma_f64 v[15:16], v[15:16], v[19:20], v[15:16]
	s_delay_alu instid0(VALU_DEP_2) | instskip(NEXT) | instid1(VALU_DEP_1)
	v_fma_f64 v[19:20], -v[17:18], v[17:18], v[13:14]
	v_fma_f64 v[17:18], v[19:20], v[15:16], v[17:18]
	s_delay_alu instid0(VALU_DEP_1) | instskip(NEXT) | instid1(VALU_DEP_1)
	v_fma_f64 v[19:20], -v[17:18], v[17:18], v[13:14]
	v_fma_f64 v[15:16], v[19:20], v[15:16], v[17:18]
	s_delay_alu instid0(VALU_DEP_1) | instskip(SKIP_2) | instid1(VALU_DEP_2)
	v_ldexp_f64 v[15:16], v[15:16], v6
	v_mul_lo_u32 v6, v10, s4
	s_wait_alu 0xfffd
	v_dual_cndmask_b32 v14, v16, v14 :: v_dual_cndmask_b32 v13, v15, v13
	s_delay_alu instid0(VALU_DEP_1) | instskip(NEXT) | instid1(VALU_DEP_1)
	v_fma_f64 v[13:14], v[13:14], 0.5, -0.5
	v_floor_f64_e32 v[13:14], v[13:14]
	s_delay_alu instid0(VALU_DEP_1) | instskip(NEXT) | instid1(VALU_DEP_1)
	v_add_f64_e64 v[13:14], v[1:2], -v[13:14]
	v_trunc_f64_e32 v[13:14], v[13:14]
	s_delay_alu instid0(VALU_DEP_1) | instskip(NEXT) | instid1(VALU_DEP_1)
	v_ldexp_f64 v[15:16], v[13:14], 0xffffffe0
	v_floor_f64_e32 v[15:16], v[15:16]
	s_delay_alu instid0(VALU_DEP_1) | instskip(SKIP_2) | instid1(VALU_DEP_3)
	v_fma_f64 v[13:14], 0xc1f00000, v[15:16], v[13:14]
	v_cvt_u32_f64_e32 v15, v[15:16]
	v_mad_co_u64_u32 v[16:17], null, v9, s4, 0
	v_cvt_u32_f64_e32 v14, v[13:14]
	v_mul_lo_u32 v13, v9, s5
	s_delay_alu instid0(VALU_DEP_1) | instskip(SKIP_1) | instid1(VALU_DEP_2)
	v_add3_u32 v17, v17, v13, v6
	v_mul_lo_u32 v6, v15, s20
	v_lshlrev_b64_e32 v[16:17], 3, v[16:17]
	v_sub_co_u32 v13, vcc_lo, s8, v14
	s_wait_alu 0xfffd
	v_sub_co_ci_u32_e64 v22, null, s9, v15, vcc_lo
	v_mul_lo_u32 v23, v14, s21
	v_mad_co_u64_u32 v[18:19], null, v14, s20, 0
	v_add_co_u32 v24, vcc_lo, v13, -1
	s_wait_alu 0xfffd
	v_add_co_ci_u32_e64 v25, null, -1, v22, vcc_lo
	v_sub_co_u32 v20, vcc_lo, v11, s26
	s_delay_alu instid0(VALU_DEP_4) | instskip(NEXT) | instid1(VALU_DEP_3)
	v_add3_u32 v19, v19, v23, v6
	v_mul_lo_u32 v6, v25, v13
	v_mul_lo_u32 v25, v24, v22
	v_mad_co_u64_u32 v[22:23], null, v24, v13, 0
	s_wait_alu 0xfffd
	v_subrev_co_ci_u32_e64 v21, null, s27, v12, vcc_lo
	v_lshlrev_b64_e32 v[18:19], 3, v[18:19]
	v_add_co_u32 v13, vcc_lo, s38, v16
	s_wait_alu 0xfffd
	v_add_co_ci_u32_e64 v16, null, s39, v17, vcc_lo
	v_lshlrev_b64_e32 v[20:21], 3, v[20:21]
	v_add3_u32 v23, v23, v25, v6
	v_add_co_u32 v6, vcc_lo, v13, v18
	s_wait_alu 0xfffd
	v_add_co_ci_u32_e64 v18, null, v16, v19, vcc_lo
	s_delay_alu instid0(VALU_DEP_3) | instskip(SKIP_4) | instid1(VALU_DEP_4)
	v_lshlrev_b64_e32 v[16:17], 2, v[22:23]
	v_lshlrev_b64_e32 v[13:14], 3, v[14:15]
	v_add_co_u32 v6, vcc_lo, v6, v20
	s_wait_alu 0xfffd
	v_add_co_ci_u32_e64 v15, null, v18, v21, vcc_lo
	v_and_b32_e32 v16, -8, v16
	s_delay_alu instid0(VALU_DEP_3) | instskip(SKIP_1) | instid1(VALU_DEP_3)
	v_add_co_u32 v6, vcc_lo, v6, v13
	s_wait_alu 0xfffd
	v_add_co_ci_u32_e64 v13, null, v15, v14, vcc_lo
	s_delay_alu instid0(VALU_DEP_2) | instskip(SKIP_1) | instid1(VALU_DEP_2)
	v_add_co_u32 v15, vcc_lo, v6, v16
	s_wait_alu 0xfffd
	v_add_co_ci_u32_e64 v16, null, v13, v17, vcc_lo
	s_delay_alu instid0(VALU_DEP_2) | instskip(SKIP_1) | instid1(VALU_DEP_2)
	v_add_co_u32 v13, vcc_lo, v15, 8
	s_wait_alu 0xfffd
	v_add_co_ci_u32_e64 v14, null, 0, v16, vcc_lo
	global_store_b32 v[15:16], v5, off offset:8
	s_branch .LBB8_14
.LBB8_13:                               ;   in Loop: Header=BB8_6 Depth=2
	s_mov_b32 s0, -1
	s_mov_b32 s17, 0
                                        ; implicit-def: $vgpr13_vgpr14
.LBB8_14:                               ;   in Loop: Header=BB8_6 Depth=2
	s_wait_alu 0xfffe
	s_and_b32 vcc_lo, exec_lo, s0
	s_wait_alu 0xfffe
	s_cbranch_vccz .LBB8_17
; %bb.15:                               ;   in Loop: Header=BB8_6 Depth=2
	s_cmp_eq_u32 s12, 0x79
                                        ; implicit-def: $vgpr13_vgpr14
	s_cbranch_scc0 .LBB8_17
; %bb.16:                               ;   in Loop: Header=BB8_6 Depth=2
	v_lshlrev_b64_e32 v[13:14], 3, v[11:12]
	s_mov_b32 s17, -1
	s_delay_alu instid0(VALU_DEP_1) | instskip(NEXT) | instid1(VALU_DEP_2)
	v_cvt_f64_u32_e32 v[14:15], v14
	v_or_b32_e32 v6, 1, v13
	s_delay_alu instid0(VALU_DEP_1) | instskip(NEXT) | instid1(VALU_DEP_3)
	v_cvt_f64_u32_e32 v[16:17], v6
	v_ldexp_f64 v[13:14], v[14:15], 32
	s_delay_alu instid0(VALU_DEP_1) | instskip(NEXT) | instid1(VALU_DEP_1)
	v_add_f64_e32 v[13:14], v[13:14], v[16:17]
	v_cmp_gt_f64_e32 vcc_lo, 0x10000000, v[13:14]
	s_wait_alu 0xfffd
	v_cndmask_b32_e64 v6, 0, 0x100, vcc_lo
	s_delay_alu instid0(VALU_DEP_1) | instskip(SKIP_1) | instid1(VALU_DEP_2)
	v_ldexp_f64 v[13:14], v[13:14], v6
	v_cndmask_b32_e64 v6, 0, 0xffffff80, vcc_lo
	v_rsq_f64_e32 v[15:16], v[13:14]
	v_cmp_class_f64_e64 vcc_lo, v[13:14], 0x260
	s_delay_alu instid0(TRANS32_DEP_1) | instskip(SKIP_1) | instid1(VALU_DEP_1)
	v_mul_f64_e32 v[17:18], v[13:14], v[15:16]
	v_mul_f64_e32 v[15:16], 0.5, v[15:16]
	v_fma_f64 v[19:20], -v[15:16], v[17:18], 0.5
	s_delay_alu instid0(VALU_DEP_1) | instskip(SKIP_1) | instid1(VALU_DEP_2)
	v_fma_f64 v[17:18], v[17:18], v[19:20], v[17:18]
	v_fma_f64 v[15:16], v[15:16], v[19:20], v[15:16]
	v_fma_f64 v[19:20], -v[17:18], v[17:18], v[13:14]
	s_delay_alu instid0(VALU_DEP_1) | instskip(NEXT) | instid1(VALU_DEP_1)
	v_fma_f64 v[17:18], v[19:20], v[15:16], v[17:18]
	v_fma_f64 v[19:20], -v[17:18], v[17:18], v[13:14]
	s_delay_alu instid0(VALU_DEP_1) | instskip(SKIP_1) | instid1(VALU_DEP_2)
	v_fma_f64 v[15:16], v[19:20], v[15:16], v[17:18]
	v_mul_lo_u32 v18, v9, s5
	v_ldexp_f64 v[15:16], v[15:16], v6
	v_mul_lo_u32 v6, v10, s4
	v_mad_co_u64_u32 v[9:10], null, v9, s4, 0
	s_delay_alu instid0(VALU_DEP_1) | instskip(NEXT) | instid1(VALU_DEP_1)
	v_add3_u32 v10, v10, v18, v6
	v_lshlrev_b64_e32 v[9:10], 3, v[9:10]
	s_wait_alu 0xfffd
	v_dual_cndmask_b32 v14, v16, v14 :: v_dual_cndmask_b32 v13, v15, v13
	s_delay_alu instid0(VALU_DEP_1) | instskip(NEXT) | instid1(VALU_DEP_1)
	v_add_f64_e32 v[13:14], -1.0, v[13:14]
	v_mul_f64_e32 v[13:14], 0.5, v[13:14]
	s_delay_alu instid0(VALU_DEP_1) | instskip(NEXT) | instid1(VALU_DEP_1)
	v_trunc_f64_e32 v[13:14], v[13:14]
	v_ldexp_f64 v[15:16], v[13:14], 0xffffffe0
	s_delay_alu instid0(VALU_DEP_1) | instskip(NEXT) | instid1(VALU_DEP_1)
	v_floor_f64_e32 v[15:16], v[15:16]
	v_fma_f64 v[13:14], 0xc1f00000, v[15:16], v[13:14]
	v_cvt_u32_f64_e32 v15, v[15:16]
	s_delay_alu instid0(VALU_DEP_2) | instskip(NEXT) | instid1(VALU_DEP_1)
	v_cvt_u32_f64_e32 v14, v[13:14]
	v_mad_co_u64_u32 v[16:17], null, v14, v14, v[14:15]
	v_mul_lo_u32 v19, v14, v15
	v_mul_lo_u32 v15, s20, v15
	;; [unrolled: 1-line block ×3, first 2 shown]
	v_mad_co_u64_u32 v[13:14], null, s20, v14, s[20:21]
	s_delay_alu instid0(VALU_DEP_4) | instskip(NEXT) | instid1(VALU_DEP_2)
	v_add3_u32 v17, v19, v17, v19
	v_add3_u32 v14, v20, v14, v15
	s_delay_alu instid0(VALU_DEP_2) | instskip(NEXT) | instid1(VALU_DEP_2)
	v_lshrrev_b64 v[15:16], 1, v[16:17]
	v_lshlrev_b64_e32 v[13:14], 3, v[13:14]
	s_delay_alu instid0(VALU_DEP_2) | instskip(SKIP_1) | instid1(VALU_DEP_3)
	v_sub_co_u32 v11, vcc_lo, v11, v15
	s_wait_alu 0xfffd
	v_sub_co_ci_u32_e64 v12, null, v12, v16, vcc_lo
	v_add_co_u32 v6, vcc_lo, s38, v9
	s_wait_alu 0xfffd
	v_add_co_ci_u32_e64 v15, null, s39, v10, vcc_lo
	s_delay_alu instid0(VALU_DEP_3) | instskip(NEXT) | instid1(VALU_DEP_3)
	v_lshlrev_b64_e32 v[9:10], 3, v[11:12]
	v_add_co_u32 v6, vcc_lo, v6, v13
	s_wait_alu 0xfffd
	s_delay_alu instid0(VALU_DEP_3) | instskip(NEXT) | instid1(VALU_DEP_2)
	v_add_co_ci_u32_e64 v11, null, v15, v14, vcc_lo
	v_add_co_u32 v13, vcc_lo, v6, v9
	s_wait_alu 0xfffd
	s_delay_alu instid0(VALU_DEP_2)
	v_add_co_ci_u32_e64 v14, null, v11, v10, vcc_lo
	global_store_b32 v[13:14], v5, off
.LBB8_17:                               ;   in Loop: Header=BB8_6 Depth=2
	s_wait_alu 0xfffe
	s_and_b32 vcc_lo, exec_lo, s17
	s_wait_alu 0xfffe
	s_cbranch_vccz .LBB8_5
; %bb.18:                               ;   in Loop: Header=BB8_6 Depth=2
	global_store_b32 v[13:14], v5, off offset:4
	s_branch .LBB8_5
.LBB8_19:
	s_endpgm
	.section	.rodata,"a",@progbits
	.p2align	6, 0x0
	.amdhsa_kernel _ZL18rocblas_trtri_fillILi128E19rocblas_complex_numIfEPS1_EvP15_rocblas_handle13rocblas_fill_ililT1_llii
		.amdhsa_group_segment_fixed_size 0
		.amdhsa_private_segment_fixed_size 0
		.amdhsa_kernarg_size 328
		.amdhsa_user_sgpr_count 2
		.amdhsa_user_sgpr_dispatch_ptr 0
		.amdhsa_user_sgpr_queue_ptr 0
		.amdhsa_user_sgpr_kernarg_segment_ptr 1
		.amdhsa_user_sgpr_dispatch_id 0
		.amdhsa_user_sgpr_private_segment_size 0
		.amdhsa_wavefront_size32 1
		.amdhsa_uses_dynamic_stack 0
		.amdhsa_enable_private_segment 0
		.amdhsa_system_sgpr_workgroup_id_x 1
		.amdhsa_system_sgpr_workgroup_id_y 0
		.amdhsa_system_sgpr_workgroup_id_z 1
		.amdhsa_system_sgpr_workgroup_info 0
		.amdhsa_system_vgpr_workitem_id 0
		.amdhsa_next_free_vgpr 26
		.amdhsa_next_free_sgpr 47
		.amdhsa_reserve_vcc 1
		.amdhsa_float_round_mode_32 0
		.amdhsa_float_round_mode_16_64 0
		.amdhsa_float_denorm_mode_32 3
		.amdhsa_float_denorm_mode_16_64 3
		.amdhsa_fp16_overflow 0
		.amdhsa_workgroup_processor_mode 1
		.amdhsa_memory_ordered 1
		.amdhsa_forward_progress 1
		.amdhsa_inst_pref_size 20
		.amdhsa_round_robin_scheduling 0
		.amdhsa_exception_fp_ieee_invalid_op 0
		.amdhsa_exception_fp_denorm_src 0
		.amdhsa_exception_fp_ieee_div_zero 0
		.amdhsa_exception_fp_ieee_overflow 0
		.amdhsa_exception_fp_ieee_underflow 0
		.amdhsa_exception_fp_ieee_inexact 0
		.amdhsa_exception_int_div_zero 0
	.end_amdhsa_kernel
	.section	.text._ZL18rocblas_trtri_fillILi128E19rocblas_complex_numIfEPS1_EvP15_rocblas_handle13rocblas_fill_ililT1_llii,"axG",@progbits,_ZL18rocblas_trtri_fillILi128E19rocblas_complex_numIfEPS1_EvP15_rocblas_handle13rocblas_fill_ililT1_llii,comdat
.Lfunc_end8:
	.size	_ZL18rocblas_trtri_fillILi128E19rocblas_complex_numIfEPS1_EvP15_rocblas_handle13rocblas_fill_ililT1_llii, .Lfunc_end8-_ZL18rocblas_trtri_fillILi128E19rocblas_complex_numIfEPS1_EvP15_rocblas_handle13rocblas_fill_ililT1_llii
                                        ; -- End function
	.set _ZL18rocblas_trtri_fillILi128E19rocblas_complex_numIfEPS1_EvP15_rocblas_handle13rocblas_fill_ililT1_llii.num_vgpr, 26
	.set _ZL18rocblas_trtri_fillILi128E19rocblas_complex_numIfEPS1_EvP15_rocblas_handle13rocblas_fill_ililT1_llii.num_agpr, 0
	.set _ZL18rocblas_trtri_fillILi128E19rocblas_complex_numIfEPS1_EvP15_rocblas_handle13rocblas_fill_ililT1_llii.numbered_sgpr, 47
	.set _ZL18rocblas_trtri_fillILi128E19rocblas_complex_numIfEPS1_EvP15_rocblas_handle13rocblas_fill_ililT1_llii.num_named_barrier, 0
	.set _ZL18rocblas_trtri_fillILi128E19rocblas_complex_numIfEPS1_EvP15_rocblas_handle13rocblas_fill_ililT1_llii.private_seg_size, 0
	.set _ZL18rocblas_trtri_fillILi128E19rocblas_complex_numIfEPS1_EvP15_rocblas_handle13rocblas_fill_ililT1_llii.uses_vcc, 1
	.set _ZL18rocblas_trtri_fillILi128E19rocblas_complex_numIfEPS1_EvP15_rocblas_handle13rocblas_fill_ililT1_llii.uses_flat_scratch, 0
	.set _ZL18rocblas_trtri_fillILi128E19rocblas_complex_numIfEPS1_EvP15_rocblas_handle13rocblas_fill_ililT1_llii.has_dyn_sized_stack, 0
	.set _ZL18rocblas_trtri_fillILi128E19rocblas_complex_numIfEPS1_EvP15_rocblas_handle13rocblas_fill_ililT1_llii.has_recursion, 0
	.set _ZL18rocblas_trtri_fillILi128E19rocblas_complex_numIfEPS1_EvP15_rocblas_handle13rocblas_fill_ililT1_llii.has_indirect_call, 0
	.section	.AMDGPU.csdata,"",@progbits
; Kernel info:
; codeLenInByte = 2472
; TotalNumSgprs: 49
; NumVgprs: 26
; ScratchSize: 0
; MemoryBound: 0
; FloatMode: 240
; IeeeMode: 1
; LDSByteSize: 0 bytes/workgroup (compile time only)
; SGPRBlocks: 0
; VGPRBlocks: 3
; NumSGPRsForWavesPerEU: 49
; NumVGPRsForWavesPerEU: 26
; Occupancy: 16
; WaveLimiterHint : 0
; COMPUTE_PGM_RSRC2:SCRATCH_EN: 0
; COMPUTE_PGM_RSRC2:USER_SGPR: 2
; COMPUTE_PGM_RSRC2:TRAP_HANDLER: 0
; COMPUTE_PGM_RSRC2:TGID_X_EN: 1
; COMPUTE_PGM_RSRC2:TGID_Y_EN: 0
; COMPUTE_PGM_RSRC2:TGID_Z_EN: 1
; COMPUTE_PGM_RSRC2:TIDIG_COMP_CNT: 0
	.section	.text._ZL26rocblas_trtri_small_kernelILi16E19rocblas_complex_numIfEPKS1_PS1_Ev13rocblas_fill_17rocblas_diagonal_iT1_lillT2_lilli,"axG",@progbits,_ZL26rocblas_trtri_small_kernelILi16E19rocblas_complex_numIfEPKS1_PS1_Ev13rocblas_fill_17rocblas_diagonal_iT1_lillT2_lilli,comdat
	.globl	_ZL26rocblas_trtri_small_kernelILi16E19rocblas_complex_numIfEPKS1_PS1_Ev13rocblas_fill_17rocblas_diagonal_iT1_lillT2_lilli ; -- Begin function _ZL26rocblas_trtri_small_kernelILi16E19rocblas_complex_numIfEPKS1_PS1_Ev13rocblas_fill_17rocblas_diagonal_iT1_lillT2_lilli
	.p2align	8
	.type	_ZL26rocblas_trtri_small_kernelILi16E19rocblas_complex_numIfEPKS1_PS1_Ev13rocblas_fill_17rocblas_diagonal_iT1_lillT2_lilli,@function
_ZL26rocblas_trtri_small_kernelILi16E19rocblas_complex_numIfEPKS1_PS1_Ev13rocblas_fill_17rocblas_diagonal_iT1_lillT2_lilli: ; @_ZL26rocblas_trtri_small_kernelILi16E19rocblas_complex_numIfEPKS1_PS1_Ev13rocblas_fill_17rocblas_diagonal_iT1_lillT2_lilli
; %bb.0:
	s_load_b32 s23, s[0:1], 0x60
	s_lshr_b32 s2, ttmp7, 16
	s_wait_kmcnt 0x0
	s_cmp_ge_u32 s2, s23
	s_cbranch_scc1 .LBB9_45
; %bb.1:
	s_clause 0x5
	s_load_b32 s28, s[0:1], 0x20
	s_load_b32 s30, s[0:1], 0x48
	s_load_b96 s[20:22], s[0:1], 0x0
	s_load_b256 s[4:11], s[0:1], 0x28
	s_load_b128 s[16:19], s[0:1], 0x10
	s_load_b128 s[12:15], s[0:1], 0x50
	s_mov_b32 s3, 0
	s_mov_b32 s26, ttmp9
	s_mov_b32 s27, s3
	s_mov_b32 s35, s3
	v_lshlrev_b32_e32 v7, 3, v0
	v_add_nc_u32_e32 v12, 1, v0
	s_wait_kmcnt 0x0
	s_ashr_i32 s29, s28, 31
	s_ashr_i32 s31, s30, 31
	s_cmp_gt_i32 s22, 0
	s_mul_u64 s[6:7], s[6:7], s[26:27]
	s_cselect_b32 s24, -1, 0
	s_cmp_lg_u32 s20, 0x7a
	s_mul_u64 s[14:15], s[14:15], s[26:27]
	s_cselect_b32 s20, -1, 0
	s_add_co_i32 s34, s22, -1
	s_cmp_lg_u32 s21, 0x84
	s_mul_u64 s[36:37], s[28:29], s[34:35]
	s_cselect_b32 s21, -1, 0
	s_lshl_b64 s[6:7], s[6:7], 3
	s_lshl_b64 s[18:19], s[18:19], 3
	;; [unrolled: 1-line block ×3, first 2 shown]
	s_add_nc_u64 s[38:39], s[6:7], s[18:19]
	v_sub_nc_u32_e32 v2, s34, v0
	s_add_nc_u64 s[6:7], s[38:39], s[36:37]
	s_lshl_b64 s[14:15], s[14:15], 3
	s_add_nc_u64 s[6:7], s[16:17], s[6:7]
	s_add_nc_u64 s[16:17], s[16:17], s[38:39]
	v_dual_mov_b32 v2, 0 :: v_dual_lshlrev_b32 v9, 3, v2
	v_add_co_u32 v10, s1, s6, v7
	s_delay_alu instid0(VALU_DEP_1)
	v_add_co_ci_u32_e64 v11, null, s7, 0, s1
	v_add_co_u32 v13, s1, s16, v7
	s_wait_alu 0xf1ff
	v_add_co_ci_u32_e64 v14, null, s17, 0, s1
	s_mul_u64 s[16:17], s[30:31], s[34:35]
	s_lshl_b64 s[10:11], s[10:11], 3
	s_wait_alu 0xfffe
	s_lshl_b64 s[16:17], s[16:17], 3
	s_add_nc_u64 s[10:11], s[14:15], s[10:11]
	v_mul_lo_u32 v1, v0, s22
	s_wait_alu 0xfffe
	s_add_nc_u64 s[14:15], s[10:11], s[16:17]
	s_lshl_b32 s25, s22, 3
	s_add_nc_u64 s[14:15], s[8:9], s[14:15]
	s_add_nc_u64 s[8:9], s[8:9], s[10:11]
	v_add_co_u32 v16, s1, s14, v7
	s_wait_alu 0xf1ff
	v_add_co_ci_u32_e64 v17, null, s15, 0, s1
	v_add_co_u32 v18, s1, s8, v7
	v_cmp_gt_u32_e64 s0, s22, v0
	v_add_lshl_u32 v8, v1, v0, 3
	v_add_nc_u32_e32 v15, s25, v7
	s_wait_alu 0xf1ff
	v_add_co_ci_u32_e64 v19, null, s9, 0, s1
	v_mov_b32_e32 v1, 1.0
	s_lshl_b64 s[6:7], s[28:29], 3
	s_lshl_b64 s[8:9], s[30:31], 3
	s_lshl_b64 s[4:5], s[4:5], 3
	s_wait_alu 0xfffe
	s_sub_nc_u64 s[18:19], 0, s[6:7]
	s_add_co_i32 s16, s25, 8
	s_lshl_b64 s[10:11], s[12:13], 3
	s_sub_nc_u64 s[12:13], 0, s[8:9]
	s_branch .LBB9_4
.LBB9_2:                                ;   in Loop: Header=BB9_4 Depth=1
	s_wait_alu 0xfffe
	s_or_b32 exec_lo, exec_lo, s17
.LBB9_3:                                ;   in Loop: Header=BB9_4 Depth=1
	s_add_co_i32 s2, s2, 0x10000
	s_delay_alu instid0(SALU_CYCLE_1)
	s_cmp_lt_u32 s2, s23
	s_cbranch_scc0 .LBB9_45
.LBB9_4:                                ; =>This Loop Header: Depth=1
                                        ;     Child Loop BB9_8 Depth 2
                                        ;     Child Loop BB9_12 Depth 2
                                        ;     Child Loop BB9_28 Depth 2
                                        ;       Child Loop BB9_33 Depth 3
                                        ;     Child Loop BB9_40 Depth 2
                                        ;     Child Loop BB9_44 Depth 2
	s_and_not1_b32 vcc_lo, exec_lo, s24
	s_wait_alu 0xfffe
	s_cbranch_vccnz .LBB9_3
; %bb.5:                                ;   in Loop: Header=BB9_4 Depth=1
	s_and_saveexec_b32 s17, s0
	s_cbranch_execz .LBB9_13
; %bb.6:                                ;   in Loop: Header=BB9_4 Depth=1
	s_mul_u64 s[14:15], s[4:5], s[2:3]
	s_and_not1_b32 vcc_lo, exec_lo, s20
	s_mov_b32 s1, -1
	s_wait_alu 0xfffe
	s_cbranch_vccnz .LBB9_10
; %bb.7:                                ;   in Loop: Header=BB9_4 Depth=1
	v_add_co_u32 v3, vcc_lo, v10, s14
	s_wait_alu 0xfffd
	v_add_co_ci_u32_e64 v4, null, s15, v11, vcc_lo
	v_mov_b32_e32 v5, v9
	s_mov_b32 s26, 0
	s_mov_b32 s27, s22
.LBB9_8:                                ;   Parent Loop BB9_4 Depth=1
                                        ; =>  This Inner Loop Header: Depth=2
	global_load_b64 v[20:21], v[3:4], off
	s_wait_alu 0xfffe
	s_add_co_i32 s27, s27, -1
	v_add_co_u32 v3, vcc_lo, v3, s18
	s_wait_alu 0xfffe
	v_cmp_le_u32_e64 s1, s27, v0
	s_wait_alu 0xfffd
	v_add_co_ci_u32_e64 v4, null, s19, v4, vcc_lo
	s_or_b32 s26, s1, s26
	s_wait_loadcnt 0x0
	ds_store_b64 v5, v[20:21]
	v_add_nc_u32_e32 v5, s25, v5
	s_wait_alu 0xfffe
	s_and_not1_b32 exec_lo, exec_lo, s26
	s_cbranch_execnz .LBB9_8
; %bb.9:                                ;   in Loop: Header=BB9_4 Depth=1
	s_or_b32 exec_lo, exec_lo, s26
	s_mov_b32 s1, 0
.LBB9_10:                               ;   in Loop: Header=BB9_4 Depth=1
	s_wait_alu 0xfffe
	s_and_b32 vcc_lo, exec_lo, s1
	s_wait_alu 0xfffe
	s_cbranch_vccz .LBB9_13
; %bb.11:                               ;   in Loop: Header=BB9_4 Depth=1
	v_add_co_u32 v3, vcc_lo, v13, s14
	s_wait_alu 0xfffd
	v_add_co_ci_u32_e64 v4, null, s15, v14, vcc_lo
	v_dual_mov_b32 v5, v7 :: v_dual_mov_b32 v6, v12
	s_mov_b32 s14, 0
.LBB9_12:                               ;   Parent Loop BB9_4 Depth=1
                                        ; =>  This Inner Loop Header: Depth=2
	global_load_b64 v[20:21], v[3:4], off
	v_add_nc_u32_e32 v6, -1, v6
	v_add_co_u32 v3, vcc_lo, v3, s6
	s_wait_alu 0xfffd
	v_add_co_ci_u32_e64 v4, null, s7, v4, vcc_lo
	s_delay_alu instid0(VALU_DEP_3)
	v_cmp_eq_u32_e64 s1, 0, v6
	s_wait_alu 0xfffe
	s_or_b32 s14, s1, s14
	s_wait_loadcnt 0x0
	ds_store_b64 v5, v[20:21]
	v_add_nc_u32_e32 v5, s25, v5
	s_wait_alu 0xfffe
	s_and_not1_b32 exec_lo, exec_lo, s14
	s_cbranch_execnz .LBB9_12
.LBB9_13:                               ;   in Loop: Header=BB9_4 Depth=1
	s_wait_alu 0xfffe
	s_or_b32 exec_lo, exec_lo, s17
	s_wait_dscnt 0x0
	; wave barrier
	global_inv scope:SCOPE_SE
	s_and_saveexec_b32 s14, s0
	s_cbranch_execz .LBB9_26
; %bb.14:                               ;   in Loop: Header=BB9_4 Depth=1
	s_and_b32 vcc_lo, exec_lo, s21
	s_mov_b32 s1, -1
	s_wait_alu 0xfffe
	s_cbranch_vccz .LBB9_24
; %bb.15:                               ;   in Loop: Header=BB9_4 Depth=1
	ds_load_b64 v[3:4], v8
	s_wait_dscnt 0x0
	v_cmp_neq_f32_e32 vcc_lo, 0, v3
	v_cmp_neq_f32_e64 s1, 0, v4
	s_or_b32 s1, vcc_lo, s1
	s_wait_alu 0xfffe
	s_and_saveexec_b32 s15, s1
	s_wait_alu 0xfffe
	s_xor_b32 s1, exec_lo, s15
	s_cbranch_execz .LBB9_21
; %bb.16:                               ;   in Loop: Header=BB9_4 Depth=1
	v_cmp_ngt_f32_e64 s15, |v3|, |v4|
                                        ; implicit-def: $vgpr5
	s_and_saveexec_b32 s17, s15
	s_wait_alu 0xfffe
	s_xor_b32 s15, exec_lo, s17
	s_cbranch_execz .LBB9_18
; %bb.17:                               ;   in Loop: Header=BB9_4 Depth=1
	v_div_scale_f32 v5, null, v4, v4, v3
	v_div_scale_f32 v21, vcc_lo, v3, v4, v3
	s_delay_alu instid0(VALU_DEP_2) | instskip(NEXT) | instid1(TRANS32_DEP_1)
	v_rcp_f32_e32 v6, v5
	v_fma_f32 v20, -v5, v6, 1.0
	s_delay_alu instid0(VALU_DEP_1) | instskip(NEXT) | instid1(VALU_DEP_1)
	v_fmac_f32_e32 v6, v20, v6
	v_mul_f32_e32 v20, v21, v6
	s_delay_alu instid0(VALU_DEP_1) | instskip(NEXT) | instid1(VALU_DEP_1)
	v_fma_f32 v22, -v5, v20, v21
	v_fmac_f32_e32 v20, v22, v6
	s_delay_alu instid0(VALU_DEP_1) | instskip(SKIP_1) | instid1(VALU_DEP_1)
	v_fma_f32 v5, -v5, v20, v21
	s_wait_alu 0xfffd
	v_div_fmas_f32 v5, v5, v6, v20
	s_delay_alu instid0(VALU_DEP_1) | instskip(NEXT) | instid1(VALU_DEP_1)
	v_div_fixup_f32 v5, v5, v4, v3
	v_fmac_f32_e32 v4, v3, v5
	s_delay_alu instid0(VALU_DEP_1) | instskip(SKIP_1) | instid1(VALU_DEP_2)
	v_div_scale_f32 v3, null, v4, v4, 1.0
	v_div_scale_f32 v21, vcc_lo, 1.0, v4, 1.0
	v_rcp_f32_e32 v6, v3
	s_delay_alu instid0(TRANS32_DEP_1) | instskip(NEXT) | instid1(VALU_DEP_1)
	v_fma_f32 v20, -v3, v6, 1.0
	v_fmac_f32_e32 v6, v20, v6
	s_delay_alu instid0(VALU_DEP_1) | instskip(NEXT) | instid1(VALU_DEP_1)
	v_mul_f32_e32 v20, v21, v6
	v_fma_f32 v22, -v3, v20, v21
	s_delay_alu instid0(VALU_DEP_1) | instskip(NEXT) | instid1(VALU_DEP_1)
	v_fmac_f32_e32 v20, v22, v6
	v_fma_f32 v3, -v3, v20, v21
	s_wait_alu 0xfffd
	s_delay_alu instid0(VALU_DEP_1) | instskip(NEXT) | instid1(VALU_DEP_1)
	v_div_fmas_f32 v3, v3, v6, v20
	v_div_fixup_f32 v3, v3, v4, 1.0
	s_delay_alu instid0(VALU_DEP_1)
	v_mul_f32_e32 v5, v5, v3
	v_xor_b32_e32 v6, 0x80000000, v3
                                        ; implicit-def: $vgpr3_vgpr4
.LBB9_18:                               ;   in Loop: Header=BB9_4 Depth=1
	s_wait_alu 0xfffe
	s_and_not1_saveexec_b32 s15, s15
	s_cbranch_execz .LBB9_20
; %bb.19:                               ;   in Loop: Header=BB9_4 Depth=1
	v_div_scale_f32 v5, null, v3, v3, v4
	v_div_scale_f32 v21, vcc_lo, v4, v3, v4
	s_delay_alu instid0(VALU_DEP_2) | instskip(NEXT) | instid1(TRANS32_DEP_1)
	v_rcp_f32_e32 v6, v5
	v_fma_f32 v20, -v5, v6, 1.0
	s_delay_alu instid0(VALU_DEP_1) | instskip(NEXT) | instid1(VALU_DEP_1)
	v_fmac_f32_e32 v6, v20, v6
	v_mul_f32_e32 v20, v21, v6
	s_delay_alu instid0(VALU_DEP_1) | instskip(NEXT) | instid1(VALU_DEP_1)
	v_fma_f32 v22, -v5, v20, v21
	v_fmac_f32_e32 v20, v22, v6
	s_delay_alu instid0(VALU_DEP_1) | instskip(SKIP_1) | instid1(VALU_DEP_1)
	v_fma_f32 v5, -v5, v20, v21
	s_wait_alu 0xfffd
	v_div_fmas_f32 v5, v5, v6, v20
	s_delay_alu instid0(VALU_DEP_1) | instskip(NEXT) | instid1(VALU_DEP_1)
	v_div_fixup_f32 v6, v5, v3, v4
	v_fmac_f32_e32 v3, v4, v6
	s_delay_alu instid0(VALU_DEP_1) | instskip(NEXT) | instid1(VALU_DEP_1)
	v_div_scale_f32 v4, null, v3, v3, 1.0
	v_rcp_f32_e32 v5, v4
	s_delay_alu instid0(TRANS32_DEP_1) | instskip(NEXT) | instid1(VALU_DEP_1)
	v_fma_f32 v20, -v4, v5, 1.0
	v_fmac_f32_e32 v5, v20, v5
	v_div_scale_f32 v20, vcc_lo, 1.0, v3, 1.0
	s_delay_alu instid0(VALU_DEP_1) | instskip(NEXT) | instid1(VALU_DEP_1)
	v_mul_f32_e32 v21, v20, v5
	v_fma_f32 v22, -v4, v21, v20
	s_delay_alu instid0(VALU_DEP_1) | instskip(NEXT) | instid1(VALU_DEP_1)
	v_fmac_f32_e32 v21, v22, v5
	v_fma_f32 v4, -v4, v21, v20
	s_wait_alu 0xfffd
	s_delay_alu instid0(VALU_DEP_1) | instskip(NEXT) | instid1(VALU_DEP_1)
	v_div_fmas_f32 v4, v4, v5, v21
	v_div_fixup_f32 v5, v4, v3, 1.0
	s_delay_alu instid0(VALU_DEP_1)
	v_mul_f32_e64 v6, v6, -v5
.LBB9_20:                               ;   in Loop: Header=BB9_4 Depth=1
	s_wait_alu 0xfffe
	s_or_b32 exec_lo, exec_lo, s15
	ds_store_b64 v8, v[5:6]
.LBB9_21:                               ;   in Loop: Header=BB9_4 Depth=1
	s_wait_alu 0xfffe
	s_and_not1_saveexec_b32 s1, s1
; %bb.22:                               ;   in Loop: Header=BB9_4 Depth=1
	ds_store_b64 v8, v[1:2]
; %bb.23:                               ;   in Loop: Header=BB9_4 Depth=1
	s_wait_alu 0xfffe
	s_or_b32 exec_lo, exec_lo, s1
	s_mov_b32 s1, 0
.LBB9_24:                               ;   in Loop: Header=BB9_4 Depth=1
	s_wait_alu 0xfffe
	s_and_not1_b32 vcc_lo, exec_lo, s1
	s_wait_alu 0xfffe
	s_cbranch_vccnz .LBB9_26
; %bb.25:                               ;   in Loop: Header=BB9_4 Depth=1
	ds_store_b64 v8, v[1:2]
.LBB9_26:                               ;   in Loop: Header=BB9_4 Depth=1
	s_wait_alu 0xfffe
	s_or_b32 exec_lo, exec_lo, s14
	v_mov_b32_e32 v3, v15
	s_mov_b32 s1, 0
	s_mov_b32 s14, 8
	; wave barrier
	s_wait_loadcnt_dscnt 0x0
	global_inv scope:SCOPE_SE
	s_branch .LBB9_28
.LBB9_27:                               ;   in Loop: Header=BB9_28 Depth=2
	v_add_nc_u32_e32 v3, s25, v3
	s_add_co_i32 s14, s14, s16
	s_cmp_eq_u32 s1, s22
	s_wait_loadcnt 0x0
	; wave barrier
	global_inv scope:SCOPE_SE
	s_cbranch_scc1 .LBB9_37
.LBB9_28:                               ;   Parent Loop BB9_4 Depth=1
                                        ; =>  This Loop Header: Depth=2
                                        ;       Child Loop BB9_33 Depth 3
	v_dual_mov_b32 v4, 0 :: v_dual_mov_b32 v5, 0
	s_wait_alu 0xfffe
	s_mul_i32 s15, s1, s22
	s_mov_b32 s17, exec_lo
	v_cmpx_lt_u32_e64 s1, v0
	s_cbranch_execz .LBB9_30
; %bb.29:                               ;   in Loop: Header=BB9_28 Depth=2
	s_wait_alu 0xfffe
	s_lshl_b32 s26, s15, 3
	s_lshl_b32 s27, s1, 3
	s_wait_alu 0xfffe
	v_add_nc_u32_e32 v4, s26, v7
	s_add_co_i32 s27, s27, s26
	s_wait_alu 0xfffe
	v_mov_b32_e32 v6, s27
	ds_load_b64 v[4:5], v4
	ds_load_b64 v[20:21], v6
	s_wait_dscnt 0x0
	v_mul_f32_e32 v6, v21, v5
	v_mul_f32_e32 v5, v20, v5
	s_delay_alu instid0(VALU_DEP_2) | instskip(NEXT) | instid1(VALU_DEP_1)
	v_fma_f32 v6, v20, v4, -v6
	v_dual_fmac_f32 v5, v21, v4 :: v_dual_add_f32 v4, 0, v6
	s_delay_alu instid0(VALU_DEP_1)
	v_add_f32_e32 v5, 0, v5
.LBB9_30:                               ;   in Loop: Header=BB9_28 Depth=2
	s_wait_alu 0xfffe
	s_or_b32 exec_lo, exec_lo, s17
	s_add_co_i32 s1, s1, 1
	s_wait_loadcnt 0x0
	s_wait_alu 0xfffe
	s_cmp_ge_i32 s1, s22
	; wave barrier
	global_inv scope:SCOPE_SE
	s_cbranch_scc1 .LBB9_27
; %bb.31:                               ;   in Loop: Header=BB9_28 Depth=2
	v_lshl_add_u32 v6, s15, 3, v7
	v_mov_b32_e32 v20, v3
	s_mov_b32 s15, s14
	s_mov_b32 s17, s1
	s_branch .LBB9_33
.LBB9_32:                               ;   in Loop: Header=BB9_33 Depth=3
	s_wait_alu 0xfffe
	s_or_b32 exec_lo, exec_lo, s26
	v_add_nc_u32_e32 v20, s25, v20
	s_add_co_i32 s17, s17, 1
	s_add_co_i32 s15, s15, 8
	s_wait_alu 0xfffe
	s_cmp_eq_u32 s22, s17
	s_wait_loadcnt 0x0
	; wave barrier
	global_inv scope:SCOPE_SE
	s_cbranch_scc1 .LBB9_27
.LBB9_33:                               ;   Parent Loop BB9_4 Depth=1
                                        ;     Parent Loop BB9_28 Depth=2
                                        ; =>    This Inner Loop Header: Depth=3
	s_mov_b32 s26, exec_lo
	s_wait_alu 0xfffe
	v_cmpx_eq_u32_e64 s17, v0
	s_cbranch_execz .LBB9_35
; %bb.34:                               ;   in Loop: Header=BB9_33 Depth=3
	ds_load_b64 v[21:22], v8
	s_wait_dscnt 0x0
	v_dual_sub_f32 v24, 0, v4 :: v_dual_mul_f32 v23, v5, v22
	v_mul_f32_e32 v25, v5, v21
	s_delay_alu instid0(VALU_DEP_2) | instskip(NEXT) | instid1(VALU_DEP_2)
	v_fmac_f32_e32 v23, v24, v21
	v_fma_f32 v24, -v4, v22, -v25
	ds_store_b64 v6, v[23:24]
.LBB9_35:                               ;   in Loop: Header=BB9_33 Depth=3
	s_or_b32 exec_lo, exec_lo, s26
	s_delay_alu instid0(SALU_CYCLE_1)
	s_mov_b32 s26, exec_lo
	; wave barrier
	s_wait_loadcnt_dscnt 0x0
	global_inv scope:SCOPE_SE
	v_cmpx_lt_u32_e64 s17, v0
	s_cbranch_execz .LBB9_32
; %bb.36:                               ;   in Loop: Header=BB9_33 Depth=3
	v_mov_b32_e32 v23, s15
	ds_load_b64 v[21:22], v20
	ds_load_b64 v[23:24], v23
	s_wait_dscnt 0x0
	v_mul_f32_e32 v25, v24, v22
	v_mul_f32_e32 v22, v23, v22
	s_delay_alu instid0(VALU_DEP_2) | instskip(NEXT) | instid1(VALU_DEP_2)
	v_fma_f32 v23, v23, v21, -v25
	v_fmac_f32_e32 v22, v24, v21
	s_delay_alu instid0(VALU_DEP_1)
	v_dual_add_f32 v4, v4, v23 :: v_dual_add_f32 v5, v5, v22
	s_branch .LBB9_32
.LBB9_37:                               ;   in Loop: Header=BB9_4 Depth=1
	s_and_saveexec_b32 s17, s0
	s_cbranch_execz .LBB9_2
; %bb.38:                               ;   in Loop: Header=BB9_4 Depth=1
	s_mul_u64 s[14:15], s[10:11], s[2:3]
	s_and_not1_b32 vcc_lo, exec_lo, s20
	s_mov_b32 s1, -1
	s_wait_alu 0xfffe
	s_cbranch_vccnz .LBB9_42
; %bb.39:                               ;   in Loop: Header=BB9_4 Depth=1
	v_add_co_u32 v3, vcc_lo, v16, s14
	s_wait_alu 0xfffd
	v_add_co_ci_u32_e64 v4, null, s15, v17, vcc_lo
	v_mov_b32_e32 v5, v9
	s_mov_b32 s26, 0
	s_mov_b32 s27, s22
.LBB9_40:                               ;   Parent Loop BB9_4 Depth=1
                                        ; =>  This Inner Loop Header: Depth=2
	ds_load_b64 v[20:21], v5
	s_wait_alu 0xfffe
	s_add_co_i32 s27, s27, -1
	v_add_nc_u32_e32 v5, s25, v5
	s_wait_alu 0xfffe
	v_cmp_le_u32_e32 vcc_lo, s27, v0
	s_or_b32 s26, vcc_lo, s26
	s_wait_dscnt 0x0
	global_store_b64 v[3:4], v[20:21], off
	v_add_co_u32 v3, s1, v3, s12
	s_wait_alu 0xf1ff
	v_add_co_ci_u32_e64 v4, null, s13, v4, s1
	s_wait_alu 0xfffe
	s_and_not1_b32 exec_lo, exec_lo, s26
	s_cbranch_execnz .LBB9_40
; %bb.41:                               ;   in Loop: Header=BB9_4 Depth=1
	s_or_b32 exec_lo, exec_lo, s26
	s_mov_b32 s1, 0
.LBB9_42:                               ;   in Loop: Header=BB9_4 Depth=1
	s_wait_alu 0xfffe
	s_and_b32 vcc_lo, exec_lo, s1
	s_wait_alu 0xfffe
	s_cbranch_vccz .LBB9_2
; %bb.43:                               ;   in Loop: Header=BB9_4 Depth=1
	v_add_co_u32 v3, vcc_lo, v18, s14
	s_wait_alu 0xfffd
	v_add_co_ci_u32_e64 v4, null, s15, v19, vcc_lo
	v_dual_mov_b32 v5, v7 :: v_dual_mov_b32 v6, v12
	s_mov_b32 s14, 0
.LBB9_44:                               ;   Parent Loop BB9_4 Depth=1
                                        ; =>  This Inner Loop Header: Depth=2
	ds_load_b64 v[20:21], v5
	v_add_nc_u32_e32 v6, -1, v6
	v_add_nc_u32_e32 v5, s25, v5
	s_delay_alu instid0(VALU_DEP_2)
	v_cmp_eq_u32_e32 vcc_lo, 0, v6
	s_wait_alu 0xfffe
	s_or_b32 s14, vcc_lo, s14
	s_wait_dscnt 0x0
	global_store_b64 v[3:4], v[20:21], off
	v_add_co_u32 v3, s1, v3, s8
	s_wait_alu 0xf1ff
	v_add_co_ci_u32_e64 v4, null, s9, v4, s1
	s_wait_alu 0xfffe
	s_and_not1_b32 exec_lo, exec_lo, s14
	s_cbranch_execnz .LBB9_44
	s_branch .LBB9_2
.LBB9_45:
	s_endpgm
	.section	.rodata,"a",@progbits
	.p2align	6, 0x0
	.amdhsa_kernel _ZL26rocblas_trtri_small_kernelILi16E19rocblas_complex_numIfEPKS1_PS1_Ev13rocblas_fill_17rocblas_diagonal_iT1_lillT2_lilli
		.amdhsa_group_segment_fixed_size 2048
		.amdhsa_private_segment_fixed_size 0
		.amdhsa_kernarg_size 100
		.amdhsa_user_sgpr_count 2
		.amdhsa_user_sgpr_dispatch_ptr 0
		.amdhsa_user_sgpr_queue_ptr 0
		.amdhsa_user_sgpr_kernarg_segment_ptr 1
		.amdhsa_user_sgpr_dispatch_id 0
		.amdhsa_user_sgpr_private_segment_size 0
		.amdhsa_wavefront_size32 1
		.amdhsa_uses_dynamic_stack 0
		.amdhsa_enable_private_segment 0
		.amdhsa_system_sgpr_workgroup_id_x 1
		.amdhsa_system_sgpr_workgroup_id_y 0
		.amdhsa_system_sgpr_workgroup_id_z 1
		.amdhsa_system_sgpr_workgroup_info 0
		.amdhsa_system_vgpr_workitem_id 0
		.amdhsa_next_free_vgpr 26
		.amdhsa_next_free_sgpr 40
		.amdhsa_reserve_vcc 1
		.amdhsa_float_round_mode_32 0
		.amdhsa_float_round_mode_16_64 0
		.amdhsa_float_denorm_mode_32 3
		.amdhsa_float_denorm_mode_16_64 3
		.amdhsa_fp16_overflow 0
		.amdhsa_workgroup_processor_mode 1
		.amdhsa_memory_ordered 1
		.amdhsa_forward_progress 1
		.amdhsa_inst_pref_size 17
		.amdhsa_round_robin_scheduling 0
		.amdhsa_exception_fp_ieee_invalid_op 0
		.amdhsa_exception_fp_denorm_src 0
		.amdhsa_exception_fp_ieee_div_zero 0
		.amdhsa_exception_fp_ieee_overflow 0
		.amdhsa_exception_fp_ieee_underflow 0
		.amdhsa_exception_fp_ieee_inexact 0
		.amdhsa_exception_int_div_zero 0
	.end_amdhsa_kernel
	.section	.text._ZL26rocblas_trtri_small_kernelILi16E19rocblas_complex_numIfEPKS1_PS1_Ev13rocblas_fill_17rocblas_diagonal_iT1_lillT2_lilli,"axG",@progbits,_ZL26rocblas_trtri_small_kernelILi16E19rocblas_complex_numIfEPKS1_PS1_Ev13rocblas_fill_17rocblas_diagonal_iT1_lillT2_lilli,comdat
.Lfunc_end9:
	.size	_ZL26rocblas_trtri_small_kernelILi16E19rocblas_complex_numIfEPKS1_PS1_Ev13rocblas_fill_17rocblas_diagonal_iT1_lillT2_lilli, .Lfunc_end9-_ZL26rocblas_trtri_small_kernelILi16E19rocblas_complex_numIfEPKS1_PS1_Ev13rocblas_fill_17rocblas_diagonal_iT1_lillT2_lilli
                                        ; -- End function
	.set _ZL26rocblas_trtri_small_kernelILi16E19rocblas_complex_numIfEPKS1_PS1_Ev13rocblas_fill_17rocblas_diagonal_iT1_lillT2_lilli.num_vgpr, 26
	.set _ZL26rocblas_trtri_small_kernelILi16E19rocblas_complex_numIfEPKS1_PS1_Ev13rocblas_fill_17rocblas_diagonal_iT1_lillT2_lilli.num_agpr, 0
	.set _ZL26rocblas_trtri_small_kernelILi16E19rocblas_complex_numIfEPKS1_PS1_Ev13rocblas_fill_17rocblas_diagonal_iT1_lillT2_lilli.numbered_sgpr, 40
	.set _ZL26rocblas_trtri_small_kernelILi16E19rocblas_complex_numIfEPKS1_PS1_Ev13rocblas_fill_17rocblas_diagonal_iT1_lillT2_lilli.num_named_barrier, 0
	.set _ZL26rocblas_trtri_small_kernelILi16E19rocblas_complex_numIfEPKS1_PS1_Ev13rocblas_fill_17rocblas_diagonal_iT1_lillT2_lilli.private_seg_size, 0
	.set _ZL26rocblas_trtri_small_kernelILi16E19rocblas_complex_numIfEPKS1_PS1_Ev13rocblas_fill_17rocblas_diagonal_iT1_lillT2_lilli.uses_vcc, 1
	.set _ZL26rocblas_trtri_small_kernelILi16E19rocblas_complex_numIfEPKS1_PS1_Ev13rocblas_fill_17rocblas_diagonal_iT1_lillT2_lilli.uses_flat_scratch, 0
	.set _ZL26rocblas_trtri_small_kernelILi16E19rocblas_complex_numIfEPKS1_PS1_Ev13rocblas_fill_17rocblas_diagonal_iT1_lillT2_lilli.has_dyn_sized_stack, 0
	.set _ZL26rocblas_trtri_small_kernelILi16E19rocblas_complex_numIfEPKS1_PS1_Ev13rocblas_fill_17rocblas_diagonal_iT1_lillT2_lilli.has_recursion, 0
	.set _ZL26rocblas_trtri_small_kernelILi16E19rocblas_complex_numIfEPKS1_PS1_Ev13rocblas_fill_17rocblas_diagonal_iT1_lillT2_lilli.has_indirect_call, 0
	.section	.AMDGPU.csdata,"",@progbits
; Kernel info:
; codeLenInByte = 2096
; TotalNumSgprs: 42
; NumVgprs: 26
; ScratchSize: 0
; MemoryBound: 0
; FloatMode: 240
; IeeeMode: 1
; LDSByteSize: 2048 bytes/workgroup (compile time only)
; SGPRBlocks: 0
; VGPRBlocks: 3
; NumSGPRsForWavesPerEU: 42
; NumVGPRsForWavesPerEU: 26
; Occupancy: 16
; WaveLimiterHint : 0
; COMPUTE_PGM_RSRC2:SCRATCH_EN: 0
; COMPUTE_PGM_RSRC2:USER_SGPR: 2
; COMPUTE_PGM_RSRC2:TRAP_HANDLER: 0
; COMPUTE_PGM_RSRC2:TGID_X_EN: 1
; COMPUTE_PGM_RSRC2:TGID_Y_EN: 0
; COMPUTE_PGM_RSRC2:TGID_Z_EN: 1
; COMPUTE_PGM_RSRC2:TIDIG_COMP_CNT: 0
	.section	.text._ZL29rocblas_trtri_diagonal_kernelILi16E19rocblas_complex_numIfEPKS1_PS1_Ev13rocblas_fill_17rocblas_diagonal_iT1_lillT2_lilli,"axG",@progbits,_ZL29rocblas_trtri_diagonal_kernelILi16E19rocblas_complex_numIfEPKS1_PS1_Ev13rocblas_fill_17rocblas_diagonal_iT1_lillT2_lilli,comdat
	.globl	_ZL29rocblas_trtri_diagonal_kernelILi16E19rocblas_complex_numIfEPKS1_PS1_Ev13rocblas_fill_17rocblas_diagonal_iT1_lillT2_lilli ; -- Begin function _ZL29rocblas_trtri_diagonal_kernelILi16E19rocblas_complex_numIfEPKS1_PS1_Ev13rocblas_fill_17rocblas_diagonal_iT1_lillT2_lilli
	.p2align	8
	.type	_ZL29rocblas_trtri_diagonal_kernelILi16E19rocblas_complex_numIfEPKS1_PS1_Ev13rocblas_fill_17rocblas_diagonal_iT1_lillT2_lilli,@function
_ZL29rocblas_trtri_diagonal_kernelILi16E19rocblas_complex_numIfEPKS1_PS1_Ev13rocblas_fill_17rocblas_diagonal_iT1_lillT2_lilli: ; @_ZL29rocblas_trtri_diagonal_kernelILi16E19rocblas_complex_numIfEPKS1_PS1_Ev13rocblas_fill_17rocblas_diagonal_iT1_lillT2_lilli
; %bb.0:
	s_load_b32 s33, s[0:1], 0x60
	s_lshr_b32 s24, ttmp7, 16
	s_wait_kmcnt 0x0
	s_cmp_ge_u32 s24, s33
	s_cbranch_scc1 .LBB10_92
; %bb.1:
	s_clause 0x5
	s_load_b96 s[4:6], s[0:1], 0x0
	s_load_b128 s[20:23], s[0:1], 0x10
	s_load_b32 s34, s[0:1], 0x20
	s_load_b256 s[8:15], s[0:1], 0x28
	s_load_b32 s30, s[0:1], 0x48
	s_load_b128 s[16:19], s[0:1], 0x50
	s_mov_b32 s25, 0
	v_cvt_f32_ubyte0_e32 v2, v0
	s_mov_b32 s1, s25
	s_mov_b32 s3, s25
	;; [unrolled: 1-line block ×5, first 2 shown]
	v_lshlrev_b32_e32 v8, 3, v0
	s_wait_kmcnt 0x0
	s_ashr_i32 s35, s34, 31
	s_ashr_i32 s2, s6, 31
	;; [unrolled: 1-line block ×3, first 2 shown]
	s_lshr_b32 s2, s2, 27
	s_lshl_b64 s[36:37], s[14:15], 3
	s_add_co_i32 s2, s6, s2
	s_lshl_b64 s[14:15], s[34:35], 5
	s_ashr_i32 s7, s2, 5
	s_add_nc_u64 s[44:45], s[12:13], s[36:37]
	s_cvt_f32_u32 s2, s7
	s_add_nc_u64 s[14:15], s[14:15], 32
	s_delay_alu instid0(SALU_CYCLE_2) | instskip(SKIP_1) | instid1(TRANS32_DEP_1)
	v_rcp_iflag_f32_e32 v1, s2
	s_sub_co_i32 s2, 0, s7
	v_readfirstlane_b32 s0, v1
	v_mov_b32_e32 v1, 0
	s_mul_f32 s0, s0, 0x4f7ffffe
	s_delay_alu instid0(SALU_CYCLE_3) | instskip(SKIP_1) | instid1(SALU_CYCLE_2)
	s_cvt_u32_f32 s0, s0
	s_wait_alu 0xfffe
	s_mul_i32 s2, s2, s0
	s_wait_alu 0xfffe
	s_mul_hi_u32 s2, s0, s2
	s_wait_alu 0xfffe
	s_add_co_i32 s0, s0, s2
	s_delay_alu instid0(SALU_CYCLE_1) | instskip(NEXT) | instid1(SALU_CYCLE_1)
	s_mul_hi_u32 s0, ttmp9, s0
	s_mul_i32 s2, s0, s7
	s_add_co_i32 s26, s0, 1
	s_wait_alu 0xfffe
	s_sub_co_i32 s2, ttmp9, s2
	s_wait_alu 0xfffe
	s_sub_co_i32 s28, s2, s7
	s_cmp_ge_u32 s2, s7
	s_cselect_b32 s0, s26, s0
	s_cselect_b32 s2, s28, s2
	s_add_co_i32 s26, s0, 1
	s_wait_alu 0xfffe
	s_cmp_ge_u32 s2, s7
	s_cselect_b32 s2, s26, s0
	s_lshl_b64 s[38:39], s[30:31], 5
	s_wait_alu 0xfffe
	s_mul_i32 s0, s2, s7
	s_add_nc_u64 s[40:41], s[38:39], 32
	s_sub_co_i32 s0, ttmp9, s0
	s_mul_u64 s[18:19], s[18:19], s[2:3]
	s_mul_u64 s[48:49], s[10:11], s[2:3]
	s_mul_u64 s[2:3], s[40:41], s[0:1]
	s_lshl_b32 s7, s0, 4
	s_wait_alu 0xfffe
	s_lshl_b64 s[40:41], s[2:3], 3
	s_sub_co_i32 s2, s6, s7
	s_lshl_b64 s[38:39], s[18:19], 3
	s_wait_alu 0xfffe
	s_min_u32 s26, s2, 16
	s_cmp_lg_u32 s6, s7
	v_cvt_f32_ubyte0_e32 v10, s26
	s_mul_u64 s[18:19], s[14:15], s[0:1]
	s_add_nc_u64 s[0:1], s[44:45], s[40:41]
	s_cselect_b32 s44, -1, 0
	s_lshl_b32 s52, s26, 1
	v_dual_mov_b32 v3, v1 :: v_dual_mov_b32 v4, s26
	v_cmp_gt_u32_e64 s2, s52, v0
	v_rcp_iflag_f32_e32 v11, v10
	v_cmp_gt_u32_e32 vcc_lo, s26, v0
	s_cmp_lg_u32 s4, 0x7a
	s_mul_u64 s[6:7], s[26:27], s[34:35]
	v_cndmask_b32_e64 v12, s52, v4, s2
	s_mul_u64 s[14:15], s[26:27], s[30:31]
	s_cselect_b32 s45, -1, 0
	s_cmp_lg_u32 s5, 0x84
	v_cndmask_b32_e64 v5, 0, 0x1800, s2
	v_cndmask_b32_e64 v20, v12, 0, vcc_lo
	v_mul_f32_e32 v11, v2, v11
	s_add_nc_u64 s[4:5], s[6:7], s[26:27]
	s_add_nc_u64 s[6:7], s[14:15], s[26:27]
	s_cselect_b32 s46, -1, 0
	v_lshlrev_b32_e32 v36, 3, v20
	v_trunc_f32_e32 v11, v11
	s_add_co_i32 s42, s26, -1
	s_lshl_b32 s28, s26, 3
	s_lshl_b64 s[50:51], s[48:49], 3
	s_lshl_b64 s[18:19], s[18:19], 3
	v_fma_f32 v12, -v11, v10, v2
	v_cndmask_b32_e64 v7, s7, 0, vcc_lo
	v_cndmask_b32_e64 v6, s6, 0, vcc_lo
	s_lshl_b64 s[6:7], s[42:43], 3
	s_lshl_b64 s[22:23], s[22:23], 3
	v_cndmask_b32_e64 v9, v5, 0x1000, vcc_lo
	v_cndmask_b32_e64 v5, s5, 0, vcc_lo
	;; [unrolled: 1-line block ×3, first 2 shown]
	s_add_nc_u64 s[4:5], s[50:51], s[18:19]
	s_wait_alu 0xfffe
	s_add_nc_u64 s[6:7], s[28:29], s[6:7]
	v_cvt_u32_f32_e32 v11, v11
	v_cmp_ge_f32_e64 vcc_lo, |v12|, v10
	s_add_nc_u64 s[50:51], s[4:5], s[22:23]
	s_wait_alu 0xfffe
	s_mul_u64 s[4:5], s[6:7], s[34:35]
	v_sub_nc_u32_e32 v2, v0, v20
	s_wait_alu 0xfffe
	s_add_nc_u64 s[4:5], s[50:51], s[4:5]
	s_wait_alu 0xfffd
	v_add_co_ci_u32_e64 v15, null, 0, v11, vcc_lo
	s_wait_alu 0xfffe
	v_add_co_u32 v11, s4, s4, v8
	s_add_co_i32 s47, s26, 1
	s_mul_i32 s49, s26, s42
	v_add_co_ci_u32_e64 v12, null, s5, 0, s4
	v_lshl_add_u32 v13, s49, 3, v8
	v_add_nc_u32_e32 v18, s26, v2
	v_mul_i32_i24_e32 v16, s47, v2
	v_sub_co_u32 v19, vcc_lo, v11, v36
	s_delay_alu instid0(VALU_DEP_4)
	v_sub_nc_u32_e32 v17, v13, v36
	s_wait_alu 0xfffd
	v_subrev_co_ci_u32_e64 v21, null, 0, v12, vcc_lo
	v_lshl_add_u32 v13, v16, 3, v9
	v_add_co_u32 v16, vcc_lo, s20, v19
	v_ashrrev_i32_e32 v19, 31, v18
	s_lshl_b64 s[18:19], s[34:35], 3
	s_mul_u64 s[34:35], s[34:35], s[42:43]
	v_lshlrev_b64_e32 v[4:5], 3, v[4:5]
	v_mul_lo_u16 v14, v15, s26
	s_lshl_b64 s[34:35], s[34:35], 3
	v_lshlrev_b64_e32 v[18:19], 3, v[18:19]
	s_add_nc_u64 s[10:11], s[0:1], s[38:39]
	s_mul_i32 s0, s26, 3
	s_mul_i32 s1, s26, s26
	s_add_nc_u64 s[34:35], s[50:51], s[34:35]
	v_cmp_gt_u32_e64 s0, s0, v0
	v_cmp_gt_u32_e64 s1, s1, v0
	v_cmp_le_u32_e64 s3, s52, v0
	v_sub_nc_u16 v0, v0, v14
	v_add_nc_u32_e32 v14, v9, v17
	s_wait_alu 0xfffd
	v_add_co_ci_u32_e64 v17, null, s21, v21, vcc_lo
	v_add_co_u32 v21, vcc_lo, s34, v4
	s_add_nc_u64 s[42:43], s[20:21], s[50:51]
	s_wait_alu 0xfffd
	v_add_co_ci_u32_e64 v22, null, s35, v5, vcc_lo
	v_add_co_u32 v18, vcc_lo, s42, v18
	s_wait_alu 0xfffd
	v_add_co_ci_u32_e64 v19, null, s43, v19, vcc_lo
	v_add_co_u32 v21, vcc_lo, v21, v8
	;; [unrolled: 3-line block ×3, first 2 shown]
	s_wait_alu 0xfffd
	v_add_co_ci_u32_e64 v5, null, s51, v5, vcc_lo
	v_sub_co_u32 v21, s7, v21, v36
	s_delay_alu instid0(VALU_DEP_3)
	v_add_co_u32 v4, vcc_lo, v4, v8
	v_and_b32_e32 v12, 0xffff, v0
	s_wait_alu 0xf1ff
	v_subrev_co_ci_u32_e64 v22, null, 0, v22, s7
	v_add_lshl_u32 v20, v20, s26, 3
	s_wait_alu 0xfffd
	v_add_co_ci_u32_e64 v5, null, 0, v5, vcc_lo
	v_sub_co_u32 v4, vcc_lo, v4, v36
	v_add_co_u32 v21, s7, s20, v21
	v_and_b32_e32 v11, 0xffff, v15
	v_cmp_gt_u16_e64 s6, 16, v15
	v_lshlrev_b32_e32 v15, 3, v12
	s_wait_alu 0xf1ff
	v_add_co_ci_u32_e64 v22, null, s21, v22, s7
	v_sub_nc_u32_e32 v23, v20, v8
	v_or_b32_e32 v4, 4, v4
	s_wait_alu 0xfffd
	v_subrev_co_ci_u32_e64 v5, null, 0, v5, vcc_lo
	v_add_co_u32 v20, vcc_lo, v21, 4
	s_wait_alu 0xfffd
	v_add_co_ci_u32_e64 v21, null, 0, v22, vcc_lo
	v_add3_u32 v22, v23, v9, -8
	v_add_co_u32 v23, vcc_lo, s20, v4
	v_sub_nc_u32_e32 v4, s28, v15
	v_add_nc_u32_e32 v24, s28, v8
	s_add_nc_u64 s[34:35], s[38:39], s[40:41]
	v_mul_u32_u24_e32 v0, s26, v11
	v_add_nc_u32_e32 v42, s26, v12
	v_mul_lo_u32 v4, s26, v4
	v_sub_nc_u32_e32 v25, v24, v36
	s_wait_alu 0xfffd
	v_add_co_ci_u32_e64 v24, null, s21, v5, vcc_lo
	s_add_nc_u64 s[20:21], s[26:27], -1
	v_lshlrev_b32_e32 v0, 3, v0
	s_wait_alu 0xfffe
	s_mul_u64 s[20:21], s[20:21], s[30:31]
	v_add_nc_u32_e32 v46, 0x800, v15
	v_sub_nc_u32_e32 v33, v4, v15
	s_wait_alu 0xfffe
	s_lshl_b64 s[20:21], s[20:21], 3
	v_lshlrev_b64_e32 v[4:5], 3, v[6:7]
	s_wait_alu 0xfffe
	s_add_nc_u64 s[20:21], s[34:35], s[20:21]
	v_add3_u32 v32, v0, v15, 0x800
	s_wait_alu 0xfffe
	s_add_nc_u64 s[20:21], s[36:37], s[20:21]
	v_add_nc_u32_e32 v34, 0x800, v0
	s_movk_i32 s7, 0x88
	s_wait_alu 0xfffe
	v_add_co_u32 v6, vcc_lo, s20, v4
	s_wait_alu 0xfffd
	v_add_co_ci_u32_e64 v7, null, s21, v5, vcc_lo
	s_add_nc_u64 s[20:21], s[36:37], s[34:35]
	v_add_co_u32 v0, vcc_lo, v6, v8
	s_wait_alu 0xfffd
	v_add_co_ci_u32_e64 v6, null, 0, v7, vcc_lo
	v_lshl_add_u32 v10, v2, 3, v9
	s_delay_alu instid0(VALU_DEP_3) | instskip(SKIP_1) | instid1(VALU_DEP_3)
	v_sub_co_u32 v0, vcc_lo, v0, v36
	s_wait_alu 0xfffd
	v_subrev_co_ci_u32_e64 v6, null, 0, v6, vcc_lo
	s_wait_alu 0xfffe
	v_add_co_u32 v7, vcc_lo, s20, v4
	v_lshlrev_b64_e32 v[3:4], 3, v[2:3]
	s_wait_alu 0xfffd
	v_add_co_ci_u32_e64 v5, null, s21, v5, vcc_lo
	v_add_co_u32 v36, vcc_lo, s12, v0
	s_wait_alu 0xfffd
	v_add_co_ci_u32_e64 v37, null, s13, v6, vcc_lo
	v_add_co_u32 v0, vcc_lo, v7, v3
	s_wait_alu 0xfffd
	v_add_co_ci_u32_e64 v3, null, v5, v4, vcc_lo
	v_cmp_gt_i32_e64 s4, s26, v2
	s_delay_alu instid0(VALU_DEP_3)
	v_add_co_u32 v39, vcc_lo, s12, v0
	v_mov_b32_e32 v0, 1.0
	v_mad_co_i64_i32 v[43:44], null, v11, s30, 0
	v_lshlrev_b32_e32 v45, 7, v11
	s_wait_alu 0xfffd
	v_add_co_ci_u32_e64 v40, null, s13, v3, vcc_lo
	v_cmp_lt_i32_e64 s5, -1, v2
	v_add_nc_u32_e32 v25, v9, v25
	v_or_b32_e32 v26, 8, v9
	v_lshlrev_b64_e32 v[3:4], 3, v[43:44]
	v_sub_nc_u32_e32 v27, 0x1ff8, v45
	v_add_nc_u32_e32 v28, -1, v11
	v_mad_u32_u24 v29, v11, s7, 0x1000
	v_add_nc_u32_e32 v30, v45, v15
	v_add_nc_u32_e32 v31, -1, v12
	v_add_nc_u32_e32 v33, 0xff8, v33
	v_add_nc_u32_e32 v35, 0x1800, v15
	;; [unrolled: 1-line block ×3, first 2 shown]
	v_lshlrev_b32_e32 v41, 3, v12
	v_lshlrev_b32_e32 v42, 3, v42
	v_add_nc_u32_e32 v43, v46, v45
	s_lshl_b64 s[12:13], s[30:31], 3
	s_sub_co_i32 s48, 0, s28
	s_lshl_b64 s[8:9], s[8:9], 3
	s_sub_nc_u64 s[22:23], 0, s[18:19]
	s_add_co_i32 s29, s28, 8
	s_lshl_b64 s[20:21], s[16:17], 3
	s_wait_alu 0xfffe
	s_sub_nc_u64 s[30:31], 0, s[12:13]
	s_branch .LBB10_4
.LBB10_2:                               ;   in Loop: Header=BB10_4 Depth=1
	s_wait_alu 0xfffe
	s_or_b32 exec_lo, exec_lo, s27
.LBB10_3:                               ;   in Loop: Header=BB10_4 Depth=1
	s_add_co_i32 s24, s24, 0x10000
	s_delay_alu instid0(SALU_CYCLE_1)
	s_cmp_lt_u32 s24, s33
	s_cbranch_scc0 .LBB10_92
.LBB10_4:                               ; =>This Loop Header: Depth=1
                                        ;     Child Loop BB10_9 Depth 2
                                        ;     Child Loop BB10_13 Depth 2
	;; [unrolled: 1-line block ×5, first 2 shown]
                                        ;       Child Loop BB10_48 Depth 3
                                        ;     Child Loop BB10_55 Depth 2
                                        ;     Child Loop BB10_62 Depth 2
	;; [unrolled: 1-line block ×6, first 2 shown]
	s_and_not1_b32 vcc_lo, exec_lo, s44
	s_wait_alu 0xfffe
	s_cbranch_vccnz .LBB10_3
; %bb.5:                                ;   in Loop: Header=BB10_4 Depth=1
	s_mul_u64 s[34:35], s[8:9], s[24:25]
	s_and_saveexec_b32 s7, s3
	s_wait_alu 0xfffe
	s_xor_b32 s7, exec_lo, s7
	s_cbranch_execz .LBB10_15
; %bb.6:                                ;   in Loop: Header=BB10_4 Depth=1
	s_and_saveexec_b32 s27, s0
	s_cbranch_execz .LBB10_14
; %bb.7:                                ;   in Loop: Header=BB10_4 Depth=1
	s_and_not1_b32 vcc_lo, exec_lo, s45
	s_mov_b32 s36, -1
	s_wait_alu 0xfffe
	s_cbranch_vccnz .LBB10_11
; %bb.8:                                ;   in Loop: Header=BB10_4 Depth=1
	v_add_co_u32 v5, vcc_lo, v16, s34
	s_wait_alu 0xfffd
	v_add_co_ci_u32_e64 v6, null, s35, v17, vcc_lo
	v_mov_b32_e32 v7, v14
	s_mov_b32 s36, s47
.LBB10_9:                               ;   Parent Loop BB10_4 Depth=1
                                        ; =>  This Inner Loop Header: Depth=2
	global_load_b64 v[44:45], v[5:6], off
	v_add_co_u32 v5, vcc_lo, v5, s22
	s_wait_alu 0xfffd
	v_add_co_ci_u32_e64 v6, null, s23, v6, vcc_lo
	s_wait_alu 0xfffe
	s_add_co_i32 s36, s36, -1
	s_wait_alu 0xfffe
	s_cmp_gt_u32 s36, 1
	s_wait_loadcnt 0x0
	ds_store_b64 v7, v[44:45]
	v_add_nc_u32_e32 v7, s48, v7
	s_cbranch_scc1 .LBB10_9
; %bb.10:                               ;   in Loop: Header=BB10_4 Depth=1
	s_mov_b32 s36, 0
.LBB10_11:                              ;   in Loop: Header=BB10_4 Depth=1
	s_wait_alu 0xfffe
	s_and_b32 vcc_lo, exec_lo, s36
	s_wait_alu 0xfffe
	s_cbranch_vccz .LBB10_14
; %bb.12:                               ;   in Loop: Header=BB10_4 Depth=1
	v_add_co_u32 v5, vcc_lo, v18, s34
	s_wait_alu 0xfffd
	v_add_co_ci_u32_e64 v6, null, s35, v19, vcc_lo
	v_mov_b32_e32 v7, v10
	s_mov_b32 s36, s26
.LBB10_13:                              ;   Parent Loop BB10_4 Depth=1
                                        ; =>  This Inner Loop Header: Depth=2
	global_load_b64 v[44:45], v[5:6], off
	v_add_co_u32 v5, vcc_lo, v5, s18
	s_wait_alu 0xfffd
	v_add_co_ci_u32_e64 v6, null, s19, v6, vcc_lo
	s_wait_alu 0xfffe
	s_add_co_i32 s36, s36, -1
	s_wait_alu 0xfffe
	s_cmp_eq_u32 s36, 0
	s_wait_loadcnt 0x0
	ds_store_b64 v7, v[44:45]
	v_add_nc_u32_e32 v7, s28, v7
	s_cbranch_scc0 .LBB10_13
.LBB10_14:                              ;   in Loop: Header=BB10_4 Depth=1
	s_wait_alu 0xfffe
	s_or_b32 exec_lo, exec_lo, s27
.LBB10_15:                              ;   in Loop: Header=BB10_4 Depth=1
	s_wait_alu 0xfffe
	s_and_not1_saveexec_b32 s7, s7
	s_cbranch_execz .LBB10_27
; %bb.16:                               ;   in Loop: Header=BB10_4 Depth=1
	s_and_b32 vcc_lo, exec_lo, s45
	s_mov_b32 s27, -1
	s_wait_alu 0xfffe
	s_cbranch_vccz .LBB10_22
; %bb.17:                               ;   in Loop: Header=BB10_4 Depth=1
	v_add_co_u32 v5, vcc_lo, v20, s34
	s_wait_alu 0xfffd
	v_add_co_ci_u32_e64 v6, null, s35, v21, vcc_lo
	v_mov_b32_e32 v44, v22
	s_mov_b32 s27, s26
	s_branch .LBB10_19
.LBB10_18:                              ;   in Loop: Header=BB10_19 Depth=2
	s_or_b32 exec_lo, exec_lo, s36
	v_add_co_u32 v5, vcc_lo, v5, s22
	s_wait_loadcnt 0x0
	ds_store_b64 v44, v[7:8]
	s_wait_alu 0xfffd
	v_add_co_ci_u32_e64 v6, null, s23, v6, vcc_lo
	v_add_nc_u32_e32 v44, s28, v44
	s_cmp_lt_i32 s27, 1
	s_cbranch_scc1 .LBB10_21
.LBB10_19:                              ;   Parent Loop BB10_4 Depth=1
                                        ; =>  This Inner Loop Header: Depth=2
	v_dual_mov_b32 v7, 0 :: v_dual_mov_b32 v8, 0
	s_wait_alu 0xfffe
	s_add_co_i32 s27, s27, -1
	s_mov_b32 s36, exec_lo
	s_wait_alu 0xfffe
	v_cmpx_ge_i32_e64 s27, v2
	s_cbranch_execz .LBB10_18
; %bb.20:                               ;   in Loop: Header=BB10_19 Depth=2
	global_load_b64 v[7:8], v[5:6], off offset:-4
	s_branch .LBB10_18
.LBB10_21:                              ;   in Loop: Header=BB10_4 Depth=1
	s_mov_b32 s27, 0
.LBB10_22:                              ;   in Loop: Header=BB10_4 Depth=1
	s_wait_alu 0xfffe
	s_and_b32 vcc_lo, exec_lo, s27
	s_wait_alu 0xfffe
	s_cbranch_vccz .LBB10_27
; %bb.23:                               ;   in Loop: Header=BB10_4 Depth=1
	v_add_co_u32 v5, vcc_lo, v23, s34
	s_wait_alu 0xfffd
	v_add_co_ci_u32_e64 v6, null, s35, v24, vcc_lo
	v_mov_b32_e32 v44, v10
	s_mov_b32 s27, 0
	s_branch .LBB10_25
.LBB10_24:                              ;   in Loop: Header=BB10_25 Depth=2
	s_or_b32 exec_lo, exec_lo, s34
	v_add_co_u32 v5, vcc_lo, v5, s18
	s_wait_loadcnt 0x0
	ds_store_b64 v44, v[7:8]
	s_wait_alu 0xfffd
	v_add_co_ci_u32_e64 v6, null, s19, v6, vcc_lo
	v_add_nc_u32_e32 v44, s28, v44
	s_add_co_i32 s27, s27, 1
	s_wait_alu 0xfffe
	s_cmp_eq_u32 s26, s27
	s_cbranch_scc1 .LBB10_27
.LBB10_25:                              ;   Parent Loop BB10_4 Depth=1
                                        ; =>  This Inner Loop Header: Depth=2
	v_dual_mov_b32 v7, 0 :: v_dual_mov_b32 v8, 0
	s_mov_b32 s34, exec_lo
	s_wait_alu 0xfffe
	v_cmpx_le_i32_e64 s27, v2
	s_cbranch_execz .LBB10_24
; %bb.26:                               ;   in Loop: Header=BB10_25 Depth=2
	global_load_b64 v[7:8], v[5:6], off offset:-4
	s_branch .LBB10_24
.LBB10_27:                              ;   in Loop: Header=BB10_4 Depth=1
	s_wait_alu 0xfffe
	s_or_b32 exec_lo, exec_lo, s7
	s_wait_dscnt 0x0
	s_barrier_signal -1
	s_barrier_wait -1
	global_inv scope:SCOPE_SE
	s_and_saveexec_b32 s27, s2
	s_cbranch_execz .LBB10_40
; %bb.28:                               ;   in Loop: Header=BB10_4 Depth=1
	s_and_b32 vcc_lo, exec_lo, s46
	s_mov_b32 s7, -1
	s_wait_alu 0xfffe
	s_cbranch_vccz .LBB10_38
; %bb.29:                               ;   in Loop: Header=BB10_4 Depth=1
	ds_load_b64 v[5:6], v13
	s_wait_dscnt 0x0
	v_cmp_neq_f32_e32 vcc_lo, 0, v5
	v_cmp_neq_f32_e64 s7, 0, v6
	s_or_b32 s7, vcc_lo, s7
	s_wait_alu 0xfffe
	s_and_saveexec_b32 s34, s7
	s_wait_alu 0xfffe
	s_xor_b32 s7, exec_lo, s34
	s_cbranch_execz .LBB10_35
; %bb.30:                               ;   in Loop: Header=BB10_4 Depth=1
	v_cmp_ngt_f32_e64 s34, |v5|, |v6|
                                        ; implicit-def: $vgpr7
	s_and_saveexec_b32 s35, s34
	s_wait_alu 0xfffe
	s_xor_b32 s34, exec_lo, s35
	s_cbranch_execz .LBB10_32
; %bb.31:                               ;   in Loop: Header=BB10_4 Depth=1
	v_div_scale_f32 v7, null, v6, v6, v5
	v_div_scale_f32 v45, vcc_lo, v5, v6, v5
	s_delay_alu instid0(VALU_DEP_2) | instskip(NEXT) | instid1(TRANS32_DEP_1)
	v_rcp_f32_e32 v8, v7
	v_fma_f32 v44, -v7, v8, 1.0
	s_delay_alu instid0(VALU_DEP_1) | instskip(NEXT) | instid1(VALU_DEP_1)
	v_fmac_f32_e32 v8, v44, v8
	v_mul_f32_e32 v44, v45, v8
	s_delay_alu instid0(VALU_DEP_1) | instskip(NEXT) | instid1(VALU_DEP_1)
	v_fma_f32 v46, -v7, v44, v45
	v_fmac_f32_e32 v44, v46, v8
	s_delay_alu instid0(VALU_DEP_1) | instskip(SKIP_1) | instid1(VALU_DEP_1)
	v_fma_f32 v7, -v7, v44, v45
	s_wait_alu 0xfffd
	v_div_fmas_f32 v7, v7, v8, v44
	s_delay_alu instid0(VALU_DEP_1) | instskip(NEXT) | instid1(VALU_DEP_1)
	v_div_fixup_f32 v7, v7, v6, v5
	v_fmac_f32_e32 v6, v5, v7
	s_delay_alu instid0(VALU_DEP_1) | instskip(SKIP_1) | instid1(VALU_DEP_2)
	v_div_scale_f32 v5, null, v6, v6, 1.0
	v_div_scale_f32 v45, vcc_lo, 1.0, v6, 1.0
	v_rcp_f32_e32 v8, v5
	s_delay_alu instid0(TRANS32_DEP_1) | instskip(NEXT) | instid1(VALU_DEP_1)
	v_fma_f32 v44, -v5, v8, 1.0
	v_fmac_f32_e32 v8, v44, v8
	s_delay_alu instid0(VALU_DEP_1) | instskip(NEXT) | instid1(VALU_DEP_1)
	v_mul_f32_e32 v44, v45, v8
	v_fma_f32 v46, -v5, v44, v45
	s_delay_alu instid0(VALU_DEP_1) | instskip(NEXT) | instid1(VALU_DEP_1)
	v_fmac_f32_e32 v44, v46, v8
	v_fma_f32 v5, -v5, v44, v45
	s_wait_alu 0xfffd
	s_delay_alu instid0(VALU_DEP_1) | instskip(NEXT) | instid1(VALU_DEP_1)
	v_div_fmas_f32 v5, v5, v8, v44
	v_div_fixup_f32 v5, v5, v6, 1.0
	s_delay_alu instid0(VALU_DEP_1)
	v_mul_f32_e32 v7, v7, v5
	v_xor_b32_e32 v8, 0x80000000, v5
                                        ; implicit-def: $vgpr5_vgpr6
.LBB10_32:                              ;   in Loop: Header=BB10_4 Depth=1
	s_wait_alu 0xfffe
	s_and_not1_saveexec_b32 s34, s34
	s_cbranch_execz .LBB10_34
; %bb.33:                               ;   in Loop: Header=BB10_4 Depth=1
	v_div_scale_f32 v7, null, v5, v5, v6
	v_div_scale_f32 v45, vcc_lo, v6, v5, v6
	s_delay_alu instid0(VALU_DEP_2) | instskip(NEXT) | instid1(TRANS32_DEP_1)
	v_rcp_f32_e32 v8, v7
	v_fma_f32 v44, -v7, v8, 1.0
	s_delay_alu instid0(VALU_DEP_1) | instskip(NEXT) | instid1(VALU_DEP_1)
	v_fmac_f32_e32 v8, v44, v8
	v_mul_f32_e32 v44, v45, v8
	s_delay_alu instid0(VALU_DEP_1) | instskip(NEXT) | instid1(VALU_DEP_1)
	v_fma_f32 v46, -v7, v44, v45
	v_fmac_f32_e32 v44, v46, v8
	s_delay_alu instid0(VALU_DEP_1) | instskip(SKIP_1) | instid1(VALU_DEP_1)
	v_fma_f32 v7, -v7, v44, v45
	s_wait_alu 0xfffd
	v_div_fmas_f32 v7, v7, v8, v44
	s_delay_alu instid0(VALU_DEP_1) | instskip(NEXT) | instid1(VALU_DEP_1)
	v_div_fixup_f32 v8, v7, v5, v6
	v_fmac_f32_e32 v5, v6, v8
	s_delay_alu instid0(VALU_DEP_1) | instskip(NEXT) | instid1(VALU_DEP_1)
	v_div_scale_f32 v6, null, v5, v5, 1.0
	v_rcp_f32_e32 v7, v6
	s_delay_alu instid0(TRANS32_DEP_1) | instskip(NEXT) | instid1(VALU_DEP_1)
	v_fma_f32 v44, -v6, v7, 1.0
	v_fmac_f32_e32 v7, v44, v7
	v_div_scale_f32 v44, vcc_lo, 1.0, v5, 1.0
	s_delay_alu instid0(VALU_DEP_1) | instskip(NEXT) | instid1(VALU_DEP_1)
	v_mul_f32_e32 v45, v44, v7
	v_fma_f32 v46, -v6, v45, v44
	s_delay_alu instid0(VALU_DEP_1) | instskip(NEXT) | instid1(VALU_DEP_1)
	v_fmac_f32_e32 v45, v46, v7
	v_fma_f32 v6, -v6, v45, v44
	s_wait_alu 0xfffd
	s_delay_alu instid0(VALU_DEP_1) | instskip(NEXT) | instid1(VALU_DEP_1)
	v_div_fmas_f32 v6, v6, v7, v45
	v_div_fixup_f32 v7, v6, v5, 1.0
	s_delay_alu instid0(VALU_DEP_1)
	v_mul_f32_e64 v8, v8, -v7
.LBB10_34:                              ;   in Loop: Header=BB10_4 Depth=1
	s_wait_alu 0xfffe
	s_or_b32 exec_lo, exec_lo, s34
	ds_store_b64 v13, v[7:8]
.LBB10_35:                              ;   in Loop: Header=BB10_4 Depth=1
	s_wait_alu 0xfffe
	s_and_not1_saveexec_b32 s7, s7
; %bb.36:                               ;   in Loop: Header=BB10_4 Depth=1
	ds_store_b64 v13, v[0:1]
; %bb.37:                               ;   in Loop: Header=BB10_4 Depth=1
	s_wait_alu 0xfffe
	s_or_b32 exec_lo, exec_lo, s7
	s_mov_b32 s7, 0
.LBB10_38:                              ;   in Loop: Header=BB10_4 Depth=1
	s_wait_alu 0xfffe
	s_and_not1_b32 vcc_lo, exec_lo, s7
	s_wait_alu 0xfffe
	s_cbranch_vccnz .LBB10_40
; %bb.39:                               ;   in Loop: Header=BB10_4 Depth=1
	ds_store_b64 v13, v[0:1]
.LBB10_40:                              ;   in Loop: Header=BB10_4 Depth=1
	s_wait_alu 0xfffe
	s_or_b32 exec_lo, exec_lo, s27
	s_wait_loadcnt_dscnt 0x0
	s_barrier_signal -1
	s_barrier_wait -1
	global_inv scope:SCOPE_SE
	s_and_saveexec_b32 s7, s2
	s_cbranch_execz .LBB10_52
; %bb.41:                               ;   in Loop: Header=BB10_4 Depth=1
	v_dual_mov_b32 v5, v26 :: v_dual_mov_b32 v6, v25
	s_mov_b32 s27, 0
	s_branch .LBB10_43
.LBB10_42:                              ;   in Loop: Header=BB10_43 Depth=2
	v_add_nc_u32_e32 v6, s28, v6
	v_add_nc_u32_e32 v5, s29, v5
	s_cmp_eq_u32 s27, s26
	s_cbranch_scc1 .LBB10_52
.LBB10_43:                              ;   Parent Loop BB10_4 Depth=1
                                        ; =>  This Loop Header: Depth=2
                                        ;       Child Loop BB10_48 Depth 3
	v_dual_mov_b32 v7, 0 :: v_dual_mov_b32 v8, 0
	s_wait_alu 0xfffe
	s_mul_i32 s34, s27, s26
	s_mov_b32 s35, exec_lo
	v_cmpx_lt_i32_e64 s27, v2
	s_cbranch_execz .LBB10_45
; %bb.44:                               ;   in Loop: Header=BB10_43 Depth=2
	s_wait_alu 0xfffe
	s_lshl_b32 s36, s34, 3
	s_lshl_b32 s37, s27, 3
	s_wait_alu 0xfffe
	v_add_nc_u32_e32 v7, s36, v10
	v_add3_u32 v44, s36, s37, v9
	ds_load_b64 v[7:8], v7
	ds_load_b64 v[44:45], v44
	s_wait_dscnt 0x0
	v_mul_f32_e32 v46, v45, v8
	v_mul_f32_e32 v8, v44, v8
	s_delay_alu instid0(VALU_DEP_2) | instskip(NEXT) | instid1(VALU_DEP_1)
	v_fma_f32 v44, v44, v7, -v46
	v_dual_fmac_f32 v8, v45, v7 :: v_dual_add_f32 v7, 0, v44
	s_delay_alu instid0(VALU_DEP_1)
	v_add_f32_e32 v8, 0, v8
.LBB10_45:                              ;   in Loop: Header=BB10_43 Depth=2
	s_wait_alu 0xfffe
	s_or_b32 exec_lo, exec_lo, s35
	s_add_co_i32 s27, s27, 1
	s_wait_alu 0xfffe
	s_cmp_ge_u32 s27, s26
	s_cbranch_scc1 .LBB10_42
; %bb.46:                               ;   in Loop: Header=BB10_43 Depth=2
	v_lshl_add_u32 v44, s34, 3, v10
	v_dual_mov_b32 v45, v5 :: v_dual_mov_b32 v46, v6
	s_mov_b32 s34, s27
	s_branch .LBB10_48
.LBB10_47:                              ;   in Loop: Header=BB10_48 Depth=3
	s_wait_alu 0xfffe
	s_or_b32 exec_lo, exec_lo, s35
	v_add_nc_u32_e32 v46, s28, v46
	v_add_nc_u32_e32 v45, 8, v45
	s_add_co_i32 s34, s34, 1
	s_wait_alu 0xfffe
	s_cmp_eq_u32 s26, s34
	s_cbranch_scc1 .LBB10_42
.LBB10_48:                              ;   Parent Loop BB10_4 Depth=1
                                        ;     Parent Loop BB10_43 Depth=2
                                        ; =>    This Inner Loop Header: Depth=3
	s_mov_b32 s35, exec_lo
	s_wait_alu 0xfffe
	v_cmpx_eq_u32_e64 s34, v2
	s_cbranch_execz .LBB10_50
; %bb.49:                               ;   in Loop: Header=BB10_48 Depth=3
	ds_load_b64 v[47:48], v13
	s_wait_dscnt 0x0
	v_dual_sub_f32 v50, 0, v7 :: v_dual_mul_f32 v49, v8, v48
	v_mul_f32_e32 v51, v8, v47
	s_delay_alu instid0(VALU_DEP_2) | instskip(NEXT) | instid1(VALU_DEP_2)
	v_fmac_f32_e32 v49, v50, v47
	v_fma_f32 v50, -v7, v48, -v51
	ds_store_b64 v44, v[49:50]
.LBB10_50:                              ;   in Loop: Header=BB10_48 Depth=3
	s_or_b32 exec_lo, exec_lo, s35
	s_delay_alu instid0(SALU_CYCLE_1)
	s_mov_b32 s35, exec_lo
	v_cmpx_lt_i32_e64 s34, v2
	s_cbranch_execz .LBB10_47
; %bb.51:                               ;   in Loop: Header=BB10_48 Depth=3
	ds_load_b64 v[47:48], v46
	ds_load_b64 v[49:50], v45
	s_wait_dscnt 0x0
	v_mul_f32_e32 v51, v50, v48
	v_mul_f32_e32 v48, v49, v48
	s_delay_alu instid0(VALU_DEP_2) | instskip(NEXT) | instid1(VALU_DEP_1)
	v_fma_f32 v49, v49, v47, -v51
	v_dual_add_f32 v7, v7, v49 :: v_dual_fmac_f32 v48, v50, v47
	s_delay_alu instid0(VALU_DEP_1)
	v_add_f32_e32 v8, v8, v48
	s_branch .LBB10_47
.LBB10_52:                              ;   in Loop: Header=BB10_4 Depth=1
	s_wait_alu 0xfffe
	s_or_b32 exec_lo, exec_lo, s7
	s_delay_alu instid0(SALU_CYCLE_1)
	s_and_b32 vcc_lo, exec_lo, s45
	s_wait_loadcnt_dscnt 0x0
	s_barrier_signal -1
	s_barrier_wait -1
	global_inv scope:SCOPE_SE
	s_wait_alu 0xfffe
	s_cbranch_vccz .LBB10_58
; %bb.53:                               ;   in Loop: Header=BB10_4 Depth=1
	s_mov_b32 s27, 0
	s_mov_b32 s7, 0
                                        ; implicit-def: $vgpr5
	s_and_saveexec_b32 s34, s1
	s_cbranch_execz .LBB10_57
; %bb.54:                               ;   in Loop: Header=BB10_4 Depth=1
	v_dual_mov_b32 v5, 0 :: v_dual_mov_b32 v6, v15
	v_dual_mov_b32 v8, v27 :: v_dual_mov_b32 v7, 0
	s_mov_b32 s35, -1
.LBB10_55:                              ;   Parent Loop BB10_4 Depth=1
                                        ; =>  This Inner Loop Header: Depth=2
	ds_load_b64 v[44:45], v6
	ds_load_b64 v[46:47], v8
	s_wait_alu 0xfffe
	s_add_co_i32 s35, s35, 1
	v_add_nc_u32_e32 v8, -8, v8
	s_wait_alu 0xfffe
	v_cmp_ge_u32_e32 vcc_lo, s35, v11
	v_add_nc_u32_e32 v6, 0x80, v6
	s_or_b32 s7, vcc_lo, s7
	s_wait_dscnt 0x0
	v_mul_f32_e32 v48, v47, v45
	v_mul_f32_e32 v45, v46, v45
	s_delay_alu instid0(VALU_DEP_2) | instskip(NEXT) | instid1(VALU_DEP_2)
	v_fma_f32 v46, v46, v44, -v48
	v_fmac_f32_e32 v45, v47, v44
	s_delay_alu instid0(VALU_DEP_2) | instskip(NEXT) | instid1(VALU_DEP_2)
	v_add_f32_e32 v7, v7, v46
	v_add_f32_e32 v5, v5, v45
	s_wait_alu 0xfffe
	s_and_not1_b32 exec_lo, exec_lo, s7
	s_cbranch_execnz .LBB10_55
; %bb.56:                               ;   in Loop: Header=BB10_4 Depth=1
	s_or_b32 exec_lo, exec_lo, s7
	s_delay_alu instid0(SALU_CYCLE_1)
	s_mov_b32 s7, exec_lo
	ds_store_b32 v43, v7
.LBB10_57:                              ;   in Loop: Header=BB10_4 Depth=1
	s_wait_alu 0xfffe
	s_or_b32 exec_lo, exec_lo, s34
	s_delay_alu instid0(SALU_CYCLE_1)
	s_and_b32 vcc_lo, exec_lo, s27
	s_wait_alu 0xfffe
	s_cbranch_vccnz .LBB10_59
	s_branch .LBB10_66
.LBB10_58:                              ;   in Loop: Header=BB10_4 Depth=1
	s_mov_b32 s7, 0
                                        ; implicit-def: $vgpr5
	s_cbranch_execz .LBB10_66
.LBB10_59:                              ;   in Loop: Header=BB10_4 Depth=1
                                        ; implicit-def: $vgpr5
	s_and_saveexec_b32 s27, s1
	s_cbranch_execz .LBB10_65
; %bb.60:                               ;   in Loop: Header=BB10_4 Depth=1
	v_dual_mov_b32 v5, 0 :: v_dual_mov_b32 v6, 0
	s_and_saveexec_b32 s34, s6
	s_cbranch_execz .LBB10_64
; %bb.61:                               ;   in Loop: Header=BB10_4 Depth=1
	v_dual_mov_b32 v5, 0 :: v_dual_mov_b32 v8, v29
	v_dual_mov_b32 v7, v30 :: v_dual_mov_b32 v44, v28
	v_mov_b32_e32 v6, 0
	s_mov_b32 s35, 0
.LBB10_62:                              ;   Parent Loop BB10_4 Depth=1
                                        ; =>  This Inner Loop Header: Depth=2
	ds_load_b64 v[45:46], v7
	ds_load_b64 v[47:48], v8
	v_add_nc_u32_e32 v44, 1, v44
	v_add_nc_u32_e32 v7, 0x80, v7
	s_delay_alu instid0(VALU_DEP_2)
	v_cmp_lt_u32_e32 vcc_lo, 14, v44
	s_wait_alu 0xfffe
	s_or_b32 s35, vcc_lo, s35
	s_wait_dscnt 0x0
	v_mul_f32_e32 v49, v48, v46
	v_mul_f32_e32 v46, v47, v46
	s_delay_alu instid0(VALU_DEP_2) | instskip(NEXT) | instid1(VALU_DEP_2)
	v_fma_f32 v47, v47, v45, -v49
	v_fmac_f32_e32 v46, v48, v45
	v_add_nc_u32_e32 v8, 8, v8
	s_delay_alu instid0(VALU_DEP_2)
	v_dual_add_f32 v6, v6, v47 :: v_dual_add_f32 v5, v5, v46
	s_wait_alu 0xfffe
	s_and_not1_b32 exec_lo, exec_lo, s35
	s_cbranch_execnz .LBB10_62
; %bb.63:                               ;   in Loop: Header=BB10_4 Depth=1
	s_or_b32 exec_lo, exec_lo, s35
.LBB10_64:                              ;   in Loop: Header=BB10_4 Depth=1
	s_wait_alu 0xfffe
	s_or_b32 exec_lo, exec_lo, s34
	s_delay_alu instid0(SALU_CYCLE_1)
	s_or_b32 s7, s7, exec_lo
	ds_store_b32 v43, v6
.LBB10_65:                              ;   in Loop: Header=BB10_4 Depth=1
	s_wait_alu 0xfffe
	s_or_b32 exec_lo, exec_lo, s27
.LBB10_66:                              ;   in Loop: Header=BB10_4 Depth=1
	s_wait_alu 0xfffe
	s_and_saveexec_b32 s27, s7
; %bb.67:                               ;   in Loop: Header=BB10_4 Depth=1
	ds_store_b32 v43, v5 offset:4
; %bb.68:                               ;   in Loop: Header=BB10_4 Depth=1
	s_wait_alu 0xfffe
	s_or_b32 exec_lo, exec_lo, s27
	s_mul_u64 s[34:35], s[16:17], s[24:25]
	s_and_b32 vcc_lo, exec_lo, s45
	s_wait_alu 0xfffe
	s_lshl_b64 s[34:35], s[34:35], 3
	s_wait_loadcnt_dscnt 0x0
	s_wait_alu 0xfffe
	s_add_nc_u64 s[34:35], s[10:11], s[34:35]
	s_barrier_signal -1
	s_barrier_wait -1
	global_inv scope:SCOPE_SE
	s_cbranch_vccz .LBB10_74
; %bb.69:                               ;   in Loop: Header=BB10_4 Depth=1
	s_mov_b32 s27, 0
	s_mov_b32 s7, 0
                                        ; implicit-def: $vgpr7
                                        ; implicit-def: $vgpr5_vgpr6
	s_and_saveexec_b32 s36, s1
	s_cbranch_execz .LBB10_73
; %bb.70:                               ;   in Loop: Header=BB10_4 Depth=1
	v_dual_mov_b32 v8, 0 :: v_dual_mov_b32 v5, v33
	v_dual_mov_b32 v6, v32 :: v_dual_mov_b32 v7, 0
	v_mov_b32_e32 v44, v31
.LBB10_71:                              ;   Parent Loop BB10_4 Depth=1
                                        ; =>  This Inner Loop Header: Depth=2
	ds_load_b64 v[45:46], v5
	ds_load_b64 v[47:48], v6
	v_add_nc_u32_e32 v44, 1, v44
	v_add_nc_u32_e32 v6, 8, v6
	s_delay_alu instid0(VALU_DEP_2)
	v_cmp_lt_u32_e32 vcc_lo, 14, v44
	s_wait_alu 0xfffe
	s_or_b32 s7, vcc_lo, s7
	s_wait_dscnt 0x0
	v_mul_f32_e32 v49, v45, v47
	v_mul_f32_e32 v45, v45, v48
	s_delay_alu instid0(VALU_DEP_2) | instskip(NEXT) | instid1(VALU_DEP_2)
	v_fma_f32 v48, v46, v48, -v49
	v_fma_f32 v45, v47, -v46, -v45
	s_delay_alu instid0(VALU_DEP_2) | instskip(NEXT) | instid1(VALU_DEP_2)
	v_dual_add_f32 v8, v8, v48 :: v_dual_add_nc_u32 v5, s48, v5
	v_add_f32_e32 v7, v7, v45
	s_wait_alu 0xfffe
	s_and_not1_b32 exec_lo, exec_lo, s7
	s_cbranch_execnz .LBB10_71
; %bb.72:                               ;   in Loop: Header=BB10_4 Depth=1
	s_or_b32 exec_lo, exec_lo, s7
	s_lshl_b64 s[38:39], s[14:15], 3
	s_mov_b32 s7, exec_lo
	s_wait_alu 0xfffe
	s_add_nc_u64 s[38:39], s[34:35], s[38:39]
	s_wait_alu 0xfffe
	v_add_co_u32 v5, s37, s38, v41
	s_wait_alu 0xf1ff
	v_add_co_ci_u32_e64 v6, null, s39, 0, s37
	s_delay_alu instid0(VALU_DEP_2) | instskip(SKIP_1) | instid1(VALU_DEP_2)
	v_add_co_u32 v5, vcc_lo, v5, v3
	s_wait_alu 0xfffd
	v_add_co_ci_u32_e64 v6, null, v6, v4, vcc_lo
	global_store_b32 v[5:6], v8, off
.LBB10_73:                              ;   in Loop: Header=BB10_4 Depth=1
	s_wait_alu 0xfffe
	s_or_b32 exec_lo, exec_lo, s36
	s_delay_alu instid0(SALU_CYCLE_1)
	s_and_b32 vcc_lo, exec_lo, s27
	s_wait_alu 0xfffe
	s_cbranch_vccnz .LBB10_75
	s_branch .LBB10_80
.LBB10_74:                              ;   in Loop: Header=BB10_4 Depth=1
	s_mov_b32 s7, 0
                                        ; implicit-def: $vgpr7
                                        ; implicit-def: $vgpr5_vgpr6
	s_cbranch_execz .LBB10_80
.LBB10_75:                              ;   in Loop: Header=BB10_4 Depth=1
                                        ; implicit-def: $vgpr7
                                        ; implicit-def: $vgpr5_vgpr6
	s_and_saveexec_b32 s27, s1
	s_cbranch_execz .LBB10_79
; %bb.76:                               ;   in Loop: Header=BB10_4 Depth=1
	v_dual_mov_b32 v8, 0 :: v_dual_mov_b32 v5, v35
	v_dual_mov_b32 v6, v34 :: v_dual_mov_b32 v7, 0
	s_mov_b32 s37, -1
	s_mov_b32 s36, 0
.LBB10_77:                              ;   Parent Loop BB10_4 Depth=1
                                        ; =>  This Inner Loop Header: Depth=2
	ds_load_b64 v[44:45], v5
	ds_load_b64 v[46:47], v6
	s_wait_alu 0xfffe
	s_add_co_i32 s37, s37, 1
	v_add_nc_u32_e32 v5, s28, v5
	s_wait_alu 0xfffe
	v_cmp_ge_u32_e32 vcc_lo, s37, v12
	s_or_b32 s36, vcc_lo, s36
	s_wait_dscnt 0x0
	v_mul_f32_e32 v48, v44, v46
	v_mul_f32_e32 v44, v44, v47
	s_delay_alu instid0(VALU_DEP_2) | instskip(NEXT) | instid1(VALU_DEP_2)
	v_fma_f32 v47, v45, v47, -v48
	v_fma_f32 v44, v46, -v45, -v44
	v_add_nc_u32_e32 v6, 8, v6
	s_delay_alu instid0(VALU_DEP_2)
	v_dual_add_f32 v8, v8, v47 :: v_dual_add_f32 v7, v7, v44
	s_wait_alu 0xfffe
	s_and_not1_b32 exec_lo, exec_lo, s36
	s_cbranch_execnz .LBB10_77
; %bb.78:                               ;   in Loop: Header=BB10_4 Depth=1
	s_or_b32 exec_lo, exec_lo, s36
	v_add_co_u32 v5, vcc_lo, s34, v3
	s_wait_alu 0xfffd
	v_add_co_ci_u32_e64 v6, null, s35, v4, vcc_lo
	s_or_b32 s7, s7, exec_lo
	v_add_co_u32 v5, vcc_lo, v5, v42
	s_wait_alu 0xfffd
	v_add_co_ci_u32_e64 v6, null, 0, v6, vcc_lo
	global_store_b32 v[5:6], v8, off
.LBB10_79:                              ;   in Loop: Header=BB10_4 Depth=1
	s_wait_alu 0xfffe
	s_or_b32 exec_lo, exec_lo, s27
.LBB10_80:                              ;   in Loop: Header=BB10_4 Depth=1
	s_wait_alu 0xfffe
	s_and_saveexec_b32 s27, s7
	s_cbranch_execz .LBB10_82
; %bb.81:                               ;   in Loop: Header=BB10_4 Depth=1
	global_store_b32 v[5:6], v7, off offset:4
.LBB10_82:                              ;   in Loop: Header=BB10_4 Depth=1
	s_wait_alu 0xfffe
	s_or_b32 exec_lo, exec_lo, s27
	s_and_saveexec_b32 s27, s2
	s_cbranch_execz .LBB10_2
; %bb.83:                               ;   in Loop: Header=BB10_4 Depth=1
	s_mul_u64 s[34:35], s[20:21], s[24:25]
	s_and_b32 vcc_lo, exec_lo, s45
	s_mov_b32 s7, -1
	s_wait_alu 0xfffe
	s_cbranch_vccz .LBB10_88
; %bb.84:                               ;   in Loop: Header=BB10_4 Depth=1
	s_and_saveexec_b32 s36, s4
	s_cbranch_execz .LBB10_87
; %bb.85:                               ;   in Loop: Header=BB10_4 Depth=1
	v_add_co_u32 v5, vcc_lo, v36, s34
	s_wait_alu 0xfffd
	v_add_co_ci_u32_e64 v6, null, s35, v37, vcc_lo
	v_mov_b32_e32 v7, v22
	s_mov_b32 s37, 0
	s_mov_b32 s38, s26
.LBB10_86:                              ;   Parent Loop BB10_4 Depth=1
                                        ; =>  This Inner Loop Header: Depth=2
	ds_load_b64 v[44:45], v7
	s_wait_alu 0xfffe
	s_add_co_i32 s38, s38, -1
	v_add_nc_u32_e32 v7, s28, v7
	s_wait_alu 0xfffe
	v_cmp_le_i32_e32 vcc_lo, s38, v2
	s_or_b32 s37, vcc_lo, s37
	s_wait_dscnt 0x0
	global_store_b64 v[5:6], v[44:45], off
	v_add_co_u32 v5, s7, v5, s30
	s_wait_alu 0xf1ff
	v_add_co_ci_u32_e64 v6, null, s31, v6, s7
	s_wait_alu 0xfffe
	s_and_not1_b32 exec_lo, exec_lo, s37
	s_cbranch_execnz .LBB10_86
.LBB10_87:                              ;   in Loop: Header=BB10_4 Depth=1
	s_wait_alu 0xfffe
	s_or_b32 exec_lo, exec_lo, s36
	s_mov_b32 s7, 0
.LBB10_88:                              ;   in Loop: Header=BB10_4 Depth=1
	s_wait_alu 0xfffe
	s_and_not1_b32 vcc_lo, exec_lo, s7
	s_wait_alu 0xfffe
	s_cbranch_vccnz .LBB10_2
; %bb.89:                               ;   in Loop: Header=BB10_4 Depth=1
	s_and_b32 exec_lo, exec_lo, s5
	s_cbranch_execz .LBB10_2
; %bb.90:                               ;   in Loop: Header=BB10_4 Depth=1
	v_add_co_u32 v5, vcc_lo, v39, s34
	s_wait_alu 0xfffd
	v_add_co_ci_u32_e64 v6, null, s35, v40, vcc_lo
	v_dual_mov_b32 v7, v10 :: v_dual_mov_b32 v8, v38
	s_mov_b32 s34, 0
.LBB10_91:                              ;   Parent Loop BB10_4 Depth=1
                                        ; =>  This Inner Loop Header: Depth=2
	ds_load_b64 v[44:45], v7
	v_add_nc_u32_e32 v8, -1, v8
	v_add_nc_u32_e32 v7, s28, v7
	s_delay_alu instid0(VALU_DEP_2)
	v_cmp_eq_u32_e32 vcc_lo, 0, v8
	s_wait_alu 0xfffe
	s_or_b32 s34, vcc_lo, s34
	s_wait_dscnt 0x0
	global_store_b64 v[5:6], v[44:45], off
	v_add_co_u32 v5, s7, v5, s12
	s_wait_alu 0xf1ff
	v_add_co_ci_u32_e64 v6, null, s13, v6, s7
	s_wait_alu 0xfffe
	s_and_not1_b32 exec_lo, exec_lo, s34
	s_cbranch_execnz .LBB10_91
	s_branch .LBB10_2
.LBB10_92:
	s_endpgm
	.section	.rodata,"a",@progbits
	.p2align	6, 0x0
	.amdhsa_kernel _ZL29rocblas_trtri_diagonal_kernelILi16E19rocblas_complex_numIfEPKS1_PS1_Ev13rocblas_fill_17rocblas_diagonal_iT1_lillT2_lilli
		.amdhsa_group_segment_fixed_size 8192
		.amdhsa_private_segment_fixed_size 0
		.amdhsa_kernarg_size 100
		.amdhsa_user_sgpr_count 2
		.amdhsa_user_sgpr_dispatch_ptr 0
		.amdhsa_user_sgpr_queue_ptr 0
		.amdhsa_user_sgpr_kernarg_segment_ptr 1
		.amdhsa_user_sgpr_dispatch_id 0
		.amdhsa_user_sgpr_private_segment_size 0
		.amdhsa_wavefront_size32 1
		.amdhsa_uses_dynamic_stack 0
		.amdhsa_enable_private_segment 0
		.amdhsa_system_sgpr_workgroup_id_x 1
		.amdhsa_system_sgpr_workgroup_id_y 0
		.amdhsa_system_sgpr_workgroup_id_z 1
		.amdhsa_system_sgpr_workgroup_info 0
		.amdhsa_system_vgpr_workitem_id 0
		.amdhsa_next_free_vgpr 52
		.amdhsa_next_free_sgpr 53
		.amdhsa_reserve_vcc 1
		.amdhsa_float_round_mode_32 0
		.amdhsa_float_round_mode_16_64 0
		.amdhsa_float_denorm_mode_32 3
		.amdhsa_float_denorm_mode_16_64 3
		.amdhsa_fp16_overflow 0
		.amdhsa_workgroup_processor_mode 1
		.amdhsa_memory_ordered 1
		.amdhsa_forward_progress 1
		.amdhsa_inst_pref_size 35
		.amdhsa_round_robin_scheduling 0
		.amdhsa_exception_fp_ieee_invalid_op 0
		.amdhsa_exception_fp_denorm_src 0
		.amdhsa_exception_fp_ieee_div_zero 0
		.amdhsa_exception_fp_ieee_overflow 0
		.amdhsa_exception_fp_ieee_underflow 0
		.amdhsa_exception_fp_ieee_inexact 0
		.amdhsa_exception_int_div_zero 0
	.end_amdhsa_kernel
	.section	.text._ZL29rocblas_trtri_diagonal_kernelILi16E19rocblas_complex_numIfEPKS1_PS1_Ev13rocblas_fill_17rocblas_diagonal_iT1_lillT2_lilli,"axG",@progbits,_ZL29rocblas_trtri_diagonal_kernelILi16E19rocblas_complex_numIfEPKS1_PS1_Ev13rocblas_fill_17rocblas_diagonal_iT1_lillT2_lilli,comdat
.Lfunc_end10:
	.size	_ZL29rocblas_trtri_diagonal_kernelILi16E19rocblas_complex_numIfEPKS1_PS1_Ev13rocblas_fill_17rocblas_diagonal_iT1_lillT2_lilli, .Lfunc_end10-_ZL29rocblas_trtri_diagonal_kernelILi16E19rocblas_complex_numIfEPKS1_PS1_Ev13rocblas_fill_17rocblas_diagonal_iT1_lillT2_lilli
                                        ; -- End function
	.set _ZL29rocblas_trtri_diagonal_kernelILi16E19rocblas_complex_numIfEPKS1_PS1_Ev13rocblas_fill_17rocblas_diagonal_iT1_lillT2_lilli.num_vgpr, 52
	.set _ZL29rocblas_trtri_diagonal_kernelILi16E19rocblas_complex_numIfEPKS1_PS1_Ev13rocblas_fill_17rocblas_diagonal_iT1_lillT2_lilli.num_agpr, 0
	.set _ZL29rocblas_trtri_diagonal_kernelILi16E19rocblas_complex_numIfEPKS1_PS1_Ev13rocblas_fill_17rocblas_diagonal_iT1_lillT2_lilli.numbered_sgpr, 53
	.set _ZL29rocblas_trtri_diagonal_kernelILi16E19rocblas_complex_numIfEPKS1_PS1_Ev13rocblas_fill_17rocblas_diagonal_iT1_lillT2_lilli.num_named_barrier, 0
	.set _ZL29rocblas_trtri_diagonal_kernelILi16E19rocblas_complex_numIfEPKS1_PS1_Ev13rocblas_fill_17rocblas_diagonal_iT1_lillT2_lilli.private_seg_size, 0
	.set _ZL29rocblas_trtri_diagonal_kernelILi16E19rocblas_complex_numIfEPKS1_PS1_Ev13rocblas_fill_17rocblas_diagonal_iT1_lillT2_lilli.uses_vcc, 1
	.set _ZL29rocblas_trtri_diagonal_kernelILi16E19rocblas_complex_numIfEPKS1_PS1_Ev13rocblas_fill_17rocblas_diagonal_iT1_lillT2_lilli.uses_flat_scratch, 0
	.set _ZL29rocblas_trtri_diagonal_kernelILi16E19rocblas_complex_numIfEPKS1_PS1_Ev13rocblas_fill_17rocblas_diagonal_iT1_lillT2_lilli.has_dyn_sized_stack, 0
	.set _ZL29rocblas_trtri_diagonal_kernelILi16E19rocblas_complex_numIfEPKS1_PS1_Ev13rocblas_fill_17rocblas_diagonal_iT1_lillT2_lilli.has_recursion, 0
	.set _ZL29rocblas_trtri_diagonal_kernelILi16E19rocblas_complex_numIfEPKS1_PS1_Ev13rocblas_fill_17rocblas_diagonal_iT1_lillT2_lilli.has_indirect_call, 0
	.section	.AMDGPU.csdata,"",@progbits
; Kernel info:
; codeLenInByte = 4424
; TotalNumSgprs: 55
; NumVgprs: 52
; ScratchSize: 0
; MemoryBound: 0
; FloatMode: 240
; IeeeMode: 1
; LDSByteSize: 8192 bytes/workgroup (compile time only)
; SGPRBlocks: 0
; VGPRBlocks: 6
; NumSGPRsForWavesPerEU: 55
; NumVGPRsForWavesPerEU: 52
; Occupancy: 16
; WaveLimiterHint : 0
; COMPUTE_PGM_RSRC2:SCRATCH_EN: 0
; COMPUTE_PGM_RSRC2:USER_SGPR: 2
; COMPUTE_PGM_RSRC2:TRAP_HANDLER: 0
; COMPUTE_PGM_RSRC2:TGID_X_EN: 1
; COMPUTE_PGM_RSRC2:TGID_Y_EN: 0
; COMPUTE_PGM_RSRC2:TGID_Z_EN: 1
; COMPUTE_PGM_RSRC2:TIDIG_COMP_CNT: 0
	.section	.text._ZL30rocblas_trtri_remainder_kernelILi16E19rocblas_complex_numIfEPKS1_PS1_Ev13rocblas_fill_17rocblas_diagonal_iT1_lillT2_lilli,"axG",@progbits,_ZL30rocblas_trtri_remainder_kernelILi16E19rocblas_complex_numIfEPKS1_PS1_Ev13rocblas_fill_17rocblas_diagonal_iT1_lillT2_lilli,comdat
	.globl	_ZL30rocblas_trtri_remainder_kernelILi16E19rocblas_complex_numIfEPKS1_PS1_Ev13rocblas_fill_17rocblas_diagonal_iT1_lillT2_lilli ; -- Begin function _ZL30rocblas_trtri_remainder_kernelILi16E19rocblas_complex_numIfEPKS1_PS1_Ev13rocblas_fill_17rocblas_diagonal_iT1_lillT2_lilli
	.p2align	8
	.type	_ZL30rocblas_trtri_remainder_kernelILi16E19rocblas_complex_numIfEPKS1_PS1_Ev13rocblas_fill_17rocblas_diagonal_iT1_lillT2_lilli,@function
_ZL30rocblas_trtri_remainder_kernelILi16E19rocblas_complex_numIfEPKS1_PS1_Ev13rocblas_fill_17rocblas_diagonal_iT1_lillT2_lilli: ; @_ZL30rocblas_trtri_remainder_kernelILi16E19rocblas_complex_numIfEPKS1_PS1_Ev13rocblas_fill_17rocblas_diagonal_iT1_lillT2_lilli
; %bb.0:
	s_load_b32 s23, s[0:1], 0x60
	s_lshr_b32 s2, ttmp7, 16
	s_wait_kmcnt 0x0
	s_cmp_ge_u32 s2, s23
	s_cbranch_scc1 .LBB11_45
; %bb.1:
	s_clause 0x5
	s_load_b32 s28, s[0:1], 0x20
	s_load_b32 s30, s[0:1], 0x48
	s_load_b96 s[20:22], s[0:1], 0x0
	s_load_b256 s[4:11], s[0:1], 0x28
	s_load_b128 s[16:19], s[0:1], 0x10
	s_load_b128 s[12:15], s[0:1], 0x50
	s_mov_b32 s3, 0
	s_mov_b32 s26, ttmp9
	s_mov_b32 s27, s3
	s_mov_b32 s35, s3
	v_lshlrev_b32_e32 v7, 3, v0
	v_add_nc_u32_e32 v12, 1, v0
	s_wait_kmcnt 0x0
	s_ashr_i32 s29, s28, 31
	s_ashr_i32 s31, s30, 31
	s_cmp_gt_i32 s22, 0
	s_mul_u64 s[6:7], s[6:7], s[26:27]
	s_cselect_b32 s24, -1, 0
	s_cmp_lg_u32 s20, 0x7a
	s_mul_u64 s[14:15], s[14:15], s[26:27]
	s_cselect_b32 s20, -1, 0
	s_add_co_i32 s34, s22, -1
	s_cmp_lg_u32 s21, 0x84
	s_mul_u64 s[36:37], s[28:29], s[34:35]
	s_cselect_b32 s21, -1, 0
	s_lshl_b64 s[6:7], s[6:7], 3
	s_lshl_b64 s[18:19], s[18:19], 3
	;; [unrolled: 1-line block ×3, first 2 shown]
	s_add_nc_u64 s[38:39], s[6:7], s[18:19]
	v_sub_nc_u32_e32 v2, s34, v0
	s_add_nc_u64 s[6:7], s[38:39], s[36:37]
	s_lshl_b64 s[14:15], s[14:15], 3
	s_add_nc_u64 s[6:7], s[16:17], s[6:7]
	s_add_nc_u64 s[16:17], s[16:17], s[38:39]
	v_dual_mov_b32 v2, 0 :: v_dual_lshlrev_b32 v9, 3, v2
	v_add_co_u32 v10, s1, s6, v7
	s_delay_alu instid0(VALU_DEP_1)
	v_add_co_ci_u32_e64 v11, null, s7, 0, s1
	v_add_co_u32 v13, s1, s16, v7
	s_wait_alu 0xf1ff
	v_add_co_ci_u32_e64 v14, null, s17, 0, s1
	s_mul_u64 s[16:17], s[30:31], s[34:35]
	s_lshl_b64 s[10:11], s[10:11], 3
	s_wait_alu 0xfffe
	s_lshl_b64 s[16:17], s[16:17], 3
	s_add_nc_u64 s[10:11], s[14:15], s[10:11]
	v_mul_lo_u32 v1, v0, s22
	s_wait_alu 0xfffe
	s_add_nc_u64 s[14:15], s[10:11], s[16:17]
	s_lshl_b32 s25, s22, 3
	s_add_nc_u64 s[14:15], s[8:9], s[14:15]
	s_add_nc_u64 s[8:9], s[8:9], s[10:11]
	v_add_co_u32 v16, s1, s14, v7
	s_wait_alu 0xf1ff
	v_add_co_ci_u32_e64 v17, null, s15, 0, s1
	v_add_co_u32 v18, s1, s8, v7
	v_cmp_gt_u32_e64 s0, s22, v0
	v_add_lshl_u32 v8, v1, v0, 3
	v_add_nc_u32_e32 v15, s25, v7
	s_wait_alu 0xf1ff
	v_add_co_ci_u32_e64 v19, null, s9, 0, s1
	v_mov_b32_e32 v1, 1.0
	s_lshl_b64 s[6:7], s[28:29], 3
	s_lshl_b64 s[8:9], s[30:31], 3
	;; [unrolled: 1-line block ×3, first 2 shown]
	s_wait_alu 0xfffe
	s_sub_nc_u64 s[18:19], 0, s[6:7]
	s_add_co_i32 s16, s25, 8
	s_lshl_b64 s[10:11], s[12:13], 3
	s_sub_nc_u64 s[12:13], 0, s[8:9]
	s_branch .LBB11_4
.LBB11_2:                               ;   in Loop: Header=BB11_4 Depth=1
	s_wait_alu 0xfffe
	s_or_b32 exec_lo, exec_lo, s17
.LBB11_3:                               ;   in Loop: Header=BB11_4 Depth=1
	s_add_co_i32 s2, s2, 0x10000
	s_delay_alu instid0(SALU_CYCLE_1)
	s_cmp_lt_u32 s2, s23
	s_cbranch_scc0 .LBB11_45
.LBB11_4:                               ; =>This Loop Header: Depth=1
                                        ;     Child Loop BB11_8 Depth 2
                                        ;     Child Loop BB11_12 Depth 2
	;; [unrolled: 1-line block ×3, first 2 shown]
                                        ;       Child Loop BB11_33 Depth 3
                                        ;     Child Loop BB11_40 Depth 2
                                        ;     Child Loop BB11_44 Depth 2
	s_and_not1_b32 vcc_lo, exec_lo, s24
	s_wait_alu 0xfffe
	s_cbranch_vccnz .LBB11_3
; %bb.5:                                ;   in Loop: Header=BB11_4 Depth=1
	s_and_saveexec_b32 s17, s0
	s_cbranch_execz .LBB11_13
; %bb.6:                                ;   in Loop: Header=BB11_4 Depth=1
	s_mul_u64 s[14:15], s[4:5], s[2:3]
	s_and_not1_b32 vcc_lo, exec_lo, s20
	s_mov_b32 s1, -1
	s_wait_alu 0xfffe
	s_cbranch_vccnz .LBB11_10
; %bb.7:                                ;   in Loop: Header=BB11_4 Depth=1
	v_add_co_u32 v3, vcc_lo, v10, s14
	s_wait_alu 0xfffd
	v_add_co_ci_u32_e64 v4, null, s15, v11, vcc_lo
	v_mov_b32_e32 v5, v9
	s_mov_b32 s26, 0
	s_mov_b32 s27, s22
.LBB11_8:                               ;   Parent Loop BB11_4 Depth=1
                                        ; =>  This Inner Loop Header: Depth=2
	global_load_b64 v[20:21], v[3:4], off
	s_wait_alu 0xfffe
	s_add_co_i32 s27, s27, -1
	v_add_co_u32 v3, vcc_lo, v3, s18
	s_wait_alu 0xfffe
	v_cmp_le_u32_e64 s1, s27, v0
	s_wait_alu 0xfffd
	v_add_co_ci_u32_e64 v4, null, s19, v4, vcc_lo
	s_or_b32 s26, s1, s26
	s_wait_loadcnt 0x0
	ds_store_b64 v5, v[20:21]
	v_add_nc_u32_e32 v5, s25, v5
	s_wait_alu 0xfffe
	s_and_not1_b32 exec_lo, exec_lo, s26
	s_cbranch_execnz .LBB11_8
; %bb.9:                                ;   in Loop: Header=BB11_4 Depth=1
	s_or_b32 exec_lo, exec_lo, s26
	s_mov_b32 s1, 0
.LBB11_10:                              ;   in Loop: Header=BB11_4 Depth=1
	s_wait_alu 0xfffe
	s_and_b32 vcc_lo, exec_lo, s1
	s_wait_alu 0xfffe
	s_cbranch_vccz .LBB11_13
; %bb.11:                               ;   in Loop: Header=BB11_4 Depth=1
	v_add_co_u32 v3, vcc_lo, v13, s14
	s_wait_alu 0xfffd
	v_add_co_ci_u32_e64 v4, null, s15, v14, vcc_lo
	v_dual_mov_b32 v5, v7 :: v_dual_mov_b32 v6, v12
	s_mov_b32 s14, 0
.LBB11_12:                              ;   Parent Loop BB11_4 Depth=1
                                        ; =>  This Inner Loop Header: Depth=2
	global_load_b64 v[20:21], v[3:4], off
	v_add_nc_u32_e32 v6, -1, v6
	v_add_co_u32 v3, vcc_lo, v3, s6
	s_wait_alu 0xfffd
	v_add_co_ci_u32_e64 v4, null, s7, v4, vcc_lo
	s_delay_alu instid0(VALU_DEP_3)
	v_cmp_eq_u32_e64 s1, 0, v6
	s_wait_alu 0xfffe
	s_or_b32 s14, s1, s14
	s_wait_loadcnt 0x0
	ds_store_b64 v5, v[20:21]
	v_add_nc_u32_e32 v5, s25, v5
	s_wait_alu 0xfffe
	s_and_not1_b32 exec_lo, exec_lo, s14
	s_cbranch_execnz .LBB11_12
.LBB11_13:                              ;   in Loop: Header=BB11_4 Depth=1
	s_wait_alu 0xfffe
	s_or_b32 exec_lo, exec_lo, s17
	s_wait_dscnt 0x0
	s_barrier_signal -1
	s_barrier_wait -1
	global_inv scope:SCOPE_SE
	s_and_saveexec_b32 s14, s0
	s_cbranch_execz .LBB11_26
; %bb.14:                               ;   in Loop: Header=BB11_4 Depth=1
	s_and_b32 vcc_lo, exec_lo, s21
	s_mov_b32 s1, -1
	s_wait_alu 0xfffe
	s_cbranch_vccz .LBB11_24
; %bb.15:                               ;   in Loop: Header=BB11_4 Depth=1
	ds_load_b64 v[3:4], v8
	s_wait_dscnt 0x0
	v_cmp_neq_f32_e32 vcc_lo, 0, v3
	v_cmp_neq_f32_e64 s1, 0, v4
	s_or_b32 s1, vcc_lo, s1
	s_wait_alu 0xfffe
	s_and_saveexec_b32 s15, s1
	s_wait_alu 0xfffe
	s_xor_b32 s1, exec_lo, s15
	s_cbranch_execz .LBB11_21
; %bb.16:                               ;   in Loop: Header=BB11_4 Depth=1
	v_cmp_ngt_f32_e64 s15, |v3|, |v4|
                                        ; implicit-def: $vgpr5
	s_and_saveexec_b32 s17, s15
	s_wait_alu 0xfffe
	s_xor_b32 s15, exec_lo, s17
	s_cbranch_execz .LBB11_18
; %bb.17:                               ;   in Loop: Header=BB11_4 Depth=1
	v_div_scale_f32 v5, null, v4, v4, v3
	v_div_scale_f32 v21, vcc_lo, v3, v4, v3
	s_delay_alu instid0(VALU_DEP_2) | instskip(NEXT) | instid1(TRANS32_DEP_1)
	v_rcp_f32_e32 v6, v5
	v_fma_f32 v20, -v5, v6, 1.0
	s_delay_alu instid0(VALU_DEP_1) | instskip(NEXT) | instid1(VALU_DEP_1)
	v_fmac_f32_e32 v6, v20, v6
	v_mul_f32_e32 v20, v21, v6
	s_delay_alu instid0(VALU_DEP_1) | instskip(NEXT) | instid1(VALU_DEP_1)
	v_fma_f32 v22, -v5, v20, v21
	v_fmac_f32_e32 v20, v22, v6
	s_delay_alu instid0(VALU_DEP_1) | instskip(SKIP_1) | instid1(VALU_DEP_1)
	v_fma_f32 v5, -v5, v20, v21
	s_wait_alu 0xfffd
	v_div_fmas_f32 v5, v5, v6, v20
	s_delay_alu instid0(VALU_DEP_1) | instskip(NEXT) | instid1(VALU_DEP_1)
	v_div_fixup_f32 v5, v5, v4, v3
	v_fmac_f32_e32 v4, v3, v5
	s_delay_alu instid0(VALU_DEP_1) | instskip(SKIP_1) | instid1(VALU_DEP_2)
	v_div_scale_f32 v3, null, v4, v4, 1.0
	v_div_scale_f32 v21, vcc_lo, 1.0, v4, 1.0
	v_rcp_f32_e32 v6, v3
	s_delay_alu instid0(TRANS32_DEP_1) | instskip(NEXT) | instid1(VALU_DEP_1)
	v_fma_f32 v20, -v3, v6, 1.0
	v_fmac_f32_e32 v6, v20, v6
	s_delay_alu instid0(VALU_DEP_1) | instskip(NEXT) | instid1(VALU_DEP_1)
	v_mul_f32_e32 v20, v21, v6
	v_fma_f32 v22, -v3, v20, v21
	s_delay_alu instid0(VALU_DEP_1) | instskip(NEXT) | instid1(VALU_DEP_1)
	v_fmac_f32_e32 v20, v22, v6
	v_fma_f32 v3, -v3, v20, v21
	s_wait_alu 0xfffd
	s_delay_alu instid0(VALU_DEP_1) | instskip(NEXT) | instid1(VALU_DEP_1)
	v_div_fmas_f32 v3, v3, v6, v20
	v_div_fixup_f32 v3, v3, v4, 1.0
	s_delay_alu instid0(VALU_DEP_1)
	v_mul_f32_e32 v5, v5, v3
	v_xor_b32_e32 v6, 0x80000000, v3
                                        ; implicit-def: $vgpr3_vgpr4
.LBB11_18:                              ;   in Loop: Header=BB11_4 Depth=1
	s_wait_alu 0xfffe
	s_and_not1_saveexec_b32 s15, s15
	s_cbranch_execz .LBB11_20
; %bb.19:                               ;   in Loop: Header=BB11_4 Depth=1
	v_div_scale_f32 v5, null, v3, v3, v4
	v_div_scale_f32 v21, vcc_lo, v4, v3, v4
	s_delay_alu instid0(VALU_DEP_2) | instskip(NEXT) | instid1(TRANS32_DEP_1)
	v_rcp_f32_e32 v6, v5
	v_fma_f32 v20, -v5, v6, 1.0
	s_delay_alu instid0(VALU_DEP_1) | instskip(NEXT) | instid1(VALU_DEP_1)
	v_fmac_f32_e32 v6, v20, v6
	v_mul_f32_e32 v20, v21, v6
	s_delay_alu instid0(VALU_DEP_1) | instskip(NEXT) | instid1(VALU_DEP_1)
	v_fma_f32 v22, -v5, v20, v21
	v_fmac_f32_e32 v20, v22, v6
	s_delay_alu instid0(VALU_DEP_1) | instskip(SKIP_1) | instid1(VALU_DEP_1)
	v_fma_f32 v5, -v5, v20, v21
	s_wait_alu 0xfffd
	v_div_fmas_f32 v5, v5, v6, v20
	s_delay_alu instid0(VALU_DEP_1) | instskip(NEXT) | instid1(VALU_DEP_1)
	v_div_fixup_f32 v6, v5, v3, v4
	v_fmac_f32_e32 v3, v4, v6
	s_delay_alu instid0(VALU_DEP_1) | instskip(NEXT) | instid1(VALU_DEP_1)
	v_div_scale_f32 v4, null, v3, v3, 1.0
	v_rcp_f32_e32 v5, v4
	s_delay_alu instid0(TRANS32_DEP_1) | instskip(NEXT) | instid1(VALU_DEP_1)
	v_fma_f32 v20, -v4, v5, 1.0
	v_fmac_f32_e32 v5, v20, v5
	v_div_scale_f32 v20, vcc_lo, 1.0, v3, 1.0
	s_delay_alu instid0(VALU_DEP_1) | instskip(NEXT) | instid1(VALU_DEP_1)
	v_mul_f32_e32 v21, v20, v5
	v_fma_f32 v22, -v4, v21, v20
	s_delay_alu instid0(VALU_DEP_1) | instskip(NEXT) | instid1(VALU_DEP_1)
	v_fmac_f32_e32 v21, v22, v5
	v_fma_f32 v4, -v4, v21, v20
	s_wait_alu 0xfffd
	s_delay_alu instid0(VALU_DEP_1) | instskip(NEXT) | instid1(VALU_DEP_1)
	v_div_fmas_f32 v4, v4, v5, v21
	v_div_fixup_f32 v5, v4, v3, 1.0
	s_delay_alu instid0(VALU_DEP_1)
	v_mul_f32_e64 v6, v6, -v5
.LBB11_20:                              ;   in Loop: Header=BB11_4 Depth=1
	s_wait_alu 0xfffe
	s_or_b32 exec_lo, exec_lo, s15
	ds_store_b64 v8, v[5:6]
.LBB11_21:                              ;   in Loop: Header=BB11_4 Depth=1
	s_wait_alu 0xfffe
	s_and_not1_saveexec_b32 s1, s1
; %bb.22:                               ;   in Loop: Header=BB11_4 Depth=1
	ds_store_b64 v8, v[1:2]
; %bb.23:                               ;   in Loop: Header=BB11_4 Depth=1
	s_wait_alu 0xfffe
	s_or_b32 exec_lo, exec_lo, s1
	s_mov_b32 s1, 0
.LBB11_24:                              ;   in Loop: Header=BB11_4 Depth=1
	s_wait_alu 0xfffe
	s_and_not1_b32 vcc_lo, exec_lo, s1
	s_wait_alu 0xfffe
	s_cbranch_vccnz .LBB11_26
; %bb.25:                               ;   in Loop: Header=BB11_4 Depth=1
	ds_store_b64 v8, v[1:2]
.LBB11_26:                              ;   in Loop: Header=BB11_4 Depth=1
	s_wait_alu 0xfffe
	s_or_b32 exec_lo, exec_lo, s14
	v_mov_b32_e32 v3, v15
	s_mov_b32 s1, 0
	s_mov_b32 s14, 8
	s_wait_loadcnt_dscnt 0x0
	s_barrier_signal -1
	s_barrier_wait -1
	global_inv scope:SCOPE_SE
	s_branch .LBB11_28
.LBB11_27:                              ;   in Loop: Header=BB11_28 Depth=2
	v_add_nc_u32_e32 v3, s25, v3
	s_add_co_i32 s14, s14, s16
	s_cmp_eq_u32 s1, s22
	s_wait_loadcnt 0x0
	s_barrier_signal -1
	s_barrier_wait -1
	global_inv scope:SCOPE_SE
	s_cbranch_scc1 .LBB11_37
.LBB11_28:                              ;   Parent Loop BB11_4 Depth=1
                                        ; =>  This Loop Header: Depth=2
                                        ;       Child Loop BB11_33 Depth 3
	v_dual_mov_b32 v4, 0 :: v_dual_mov_b32 v5, 0
	s_wait_alu 0xfffe
	s_mul_i32 s15, s1, s22
	s_mov_b32 s17, exec_lo
	v_cmpx_lt_u32_e64 s1, v0
	s_cbranch_execz .LBB11_30
; %bb.29:                               ;   in Loop: Header=BB11_28 Depth=2
	s_wait_alu 0xfffe
	s_lshl_b32 s26, s15, 3
	s_lshl_b32 s27, s1, 3
	s_wait_alu 0xfffe
	v_add_nc_u32_e32 v4, s26, v7
	s_add_co_i32 s27, s27, s26
	s_wait_alu 0xfffe
	v_mov_b32_e32 v6, s27
	ds_load_b64 v[4:5], v4
	ds_load_b64 v[20:21], v6
	s_wait_dscnt 0x0
	v_mul_f32_e32 v6, v21, v5
	v_mul_f32_e32 v5, v20, v5
	s_delay_alu instid0(VALU_DEP_2) | instskip(NEXT) | instid1(VALU_DEP_1)
	v_fma_f32 v6, v20, v4, -v6
	v_dual_fmac_f32 v5, v21, v4 :: v_dual_add_f32 v4, 0, v6
	s_delay_alu instid0(VALU_DEP_1)
	v_add_f32_e32 v5, 0, v5
.LBB11_30:                              ;   in Loop: Header=BB11_28 Depth=2
	s_wait_alu 0xfffe
	s_or_b32 exec_lo, exec_lo, s17
	s_add_co_i32 s1, s1, 1
	s_wait_loadcnt 0x0
	s_wait_alu 0xfffe
	s_cmp_ge_i32 s1, s22
	s_barrier_signal -1
	s_barrier_wait -1
	global_inv scope:SCOPE_SE
	s_cbranch_scc1 .LBB11_27
; %bb.31:                               ;   in Loop: Header=BB11_28 Depth=2
	v_lshl_add_u32 v6, s15, 3, v7
	v_mov_b32_e32 v20, v3
	s_mov_b32 s15, s14
	s_mov_b32 s17, s1
	s_branch .LBB11_33
.LBB11_32:                              ;   in Loop: Header=BB11_33 Depth=3
	s_wait_alu 0xfffe
	s_or_b32 exec_lo, exec_lo, s26
	v_add_nc_u32_e32 v20, s25, v20
	s_add_co_i32 s17, s17, 1
	s_add_co_i32 s15, s15, 8
	s_wait_alu 0xfffe
	s_cmp_eq_u32 s22, s17
	s_wait_loadcnt 0x0
	s_barrier_signal -1
	s_barrier_wait -1
	global_inv scope:SCOPE_SE
	s_cbranch_scc1 .LBB11_27
.LBB11_33:                              ;   Parent Loop BB11_4 Depth=1
                                        ;     Parent Loop BB11_28 Depth=2
                                        ; =>    This Inner Loop Header: Depth=3
	s_mov_b32 s26, exec_lo
	s_wait_alu 0xfffe
	v_cmpx_eq_u32_e64 s17, v0
	s_cbranch_execz .LBB11_35
; %bb.34:                               ;   in Loop: Header=BB11_33 Depth=3
	ds_load_b64 v[21:22], v8
	s_wait_dscnt 0x0
	v_dual_sub_f32 v24, 0, v4 :: v_dual_mul_f32 v23, v5, v22
	v_mul_f32_e32 v25, v5, v21
	s_delay_alu instid0(VALU_DEP_2) | instskip(NEXT) | instid1(VALU_DEP_2)
	v_fmac_f32_e32 v23, v24, v21
	v_fma_f32 v24, -v4, v22, -v25
	ds_store_b64 v6, v[23:24]
.LBB11_35:                              ;   in Loop: Header=BB11_33 Depth=3
	s_or_b32 exec_lo, exec_lo, s26
	s_delay_alu instid0(SALU_CYCLE_1)
	s_mov_b32 s26, exec_lo
	s_wait_loadcnt_dscnt 0x0
	s_barrier_signal -1
	s_barrier_wait -1
	global_inv scope:SCOPE_SE
	v_cmpx_lt_u32_e64 s17, v0
	s_cbranch_execz .LBB11_32
; %bb.36:                               ;   in Loop: Header=BB11_33 Depth=3
	v_mov_b32_e32 v23, s15
	ds_load_b64 v[21:22], v20
	ds_load_b64 v[23:24], v23
	s_wait_dscnt 0x0
	v_mul_f32_e32 v25, v24, v22
	v_mul_f32_e32 v22, v23, v22
	s_delay_alu instid0(VALU_DEP_2) | instskip(NEXT) | instid1(VALU_DEP_2)
	v_fma_f32 v23, v23, v21, -v25
	v_fmac_f32_e32 v22, v24, v21
	s_delay_alu instid0(VALU_DEP_1)
	v_dual_add_f32 v4, v4, v23 :: v_dual_add_f32 v5, v5, v22
	s_branch .LBB11_32
.LBB11_37:                              ;   in Loop: Header=BB11_4 Depth=1
	s_and_saveexec_b32 s17, s0
	s_cbranch_execz .LBB11_2
; %bb.38:                               ;   in Loop: Header=BB11_4 Depth=1
	s_mul_u64 s[14:15], s[10:11], s[2:3]
	s_and_not1_b32 vcc_lo, exec_lo, s20
	s_mov_b32 s1, -1
	s_wait_alu 0xfffe
	s_cbranch_vccnz .LBB11_42
; %bb.39:                               ;   in Loop: Header=BB11_4 Depth=1
	v_add_co_u32 v3, vcc_lo, v16, s14
	s_wait_alu 0xfffd
	v_add_co_ci_u32_e64 v4, null, s15, v17, vcc_lo
	v_mov_b32_e32 v5, v9
	s_mov_b32 s26, 0
	s_mov_b32 s27, s22
.LBB11_40:                              ;   Parent Loop BB11_4 Depth=1
                                        ; =>  This Inner Loop Header: Depth=2
	ds_load_b64 v[20:21], v5
	s_wait_alu 0xfffe
	s_add_co_i32 s27, s27, -1
	v_add_nc_u32_e32 v5, s25, v5
	s_wait_alu 0xfffe
	v_cmp_le_u32_e32 vcc_lo, s27, v0
	s_or_b32 s26, vcc_lo, s26
	s_wait_dscnt 0x0
	global_store_b64 v[3:4], v[20:21], off
	v_add_co_u32 v3, s1, v3, s12
	s_wait_alu 0xf1ff
	v_add_co_ci_u32_e64 v4, null, s13, v4, s1
	s_wait_alu 0xfffe
	s_and_not1_b32 exec_lo, exec_lo, s26
	s_cbranch_execnz .LBB11_40
; %bb.41:                               ;   in Loop: Header=BB11_4 Depth=1
	s_or_b32 exec_lo, exec_lo, s26
	s_mov_b32 s1, 0
.LBB11_42:                              ;   in Loop: Header=BB11_4 Depth=1
	s_wait_alu 0xfffe
	s_and_b32 vcc_lo, exec_lo, s1
	s_wait_alu 0xfffe
	s_cbranch_vccz .LBB11_2
; %bb.43:                               ;   in Loop: Header=BB11_4 Depth=1
	v_add_co_u32 v3, vcc_lo, v18, s14
	s_wait_alu 0xfffd
	v_add_co_ci_u32_e64 v4, null, s15, v19, vcc_lo
	v_dual_mov_b32 v5, v7 :: v_dual_mov_b32 v6, v12
	s_mov_b32 s14, 0
.LBB11_44:                              ;   Parent Loop BB11_4 Depth=1
                                        ; =>  This Inner Loop Header: Depth=2
	ds_load_b64 v[20:21], v5
	v_add_nc_u32_e32 v6, -1, v6
	v_add_nc_u32_e32 v5, s25, v5
	s_delay_alu instid0(VALU_DEP_2)
	v_cmp_eq_u32_e32 vcc_lo, 0, v6
	s_wait_alu 0xfffe
	s_or_b32 s14, vcc_lo, s14
	s_wait_dscnt 0x0
	global_store_b64 v[3:4], v[20:21], off
	v_add_co_u32 v3, s1, v3, s8
	s_wait_alu 0xf1ff
	v_add_co_ci_u32_e64 v4, null, s9, v4, s1
	s_wait_alu 0xfffe
	s_and_not1_b32 exec_lo, exec_lo, s14
	s_cbranch_execnz .LBB11_44
	s_branch .LBB11_2
.LBB11_45:
	s_endpgm
	.section	.rodata,"a",@progbits
	.p2align	6, 0x0
	.amdhsa_kernel _ZL30rocblas_trtri_remainder_kernelILi16E19rocblas_complex_numIfEPKS1_PS1_Ev13rocblas_fill_17rocblas_diagonal_iT1_lillT2_lilli
		.amdhsa_group_segment_fixed_size 8192
		.amdhsa_private_segment_fixed_size 0
		.amdhsa_kernarg_size 100
		.amdhsa_user_sgpr_count 2
		.amdhsa_user_sgpr_dispatch_ptr 0
		.amdhsa_user_sgpr_queue_ptr 0
		.amdhsa_user_sgpr_kernarg_segment_ptr 1
		.amdhsa_user_sgpr_dispatch_id 0
		.amdhsa_user_sgpr_private_segment_size 0
		.amdhsa_wavefront_size32 1
		.amdhsa_uses_dynamic_stack 0
		.amdhsa_enable_private_segment 0
		.amdhsa_system_sgpr_workgroup_id_x 1
		.amdhsa_system_sgpr_workgroup_id_y 0
		.amdhsa_system_sgpr_workgroup_id_z 1
		.amdhsa_system_sgpr_workgroup_info 0
		.amdhsa_system_vgpr_workitem_id 0
		.amdhsa_next_free_vgpr 26
		.amdhsa_next_free_sgpr 40
		.amdhsa_reserve_vcc 1
		.amdhsa_float_round_mode_32 0
		.amdhsa_float_round_mode_16_64 0
		.amdhsa_float_denorm_mode_32 3
		.amdhsa_float_denorm_mode_16_64 3
		.amdhsa_fp16_overflow 0
		.amdhsa_workgroup_processor_mode 1
		.amdhsa_memory_ordered 1
		.amdhsa_forward_progress 1
		.amdhsa_inst_pref_size 17
		.amdhsa_round_robin_scheduling 0
		.amdhsa_exception_fp_ieee_invalid_op 0
		.amdhsa_exception_fp_denorm_src 0
		.amdhsa_exception_fp_ieee_div_zero 0
		.amdhsa_exception_fp_ieee_overflow 0
		.amdhsa_exception_fp_ieee_underflow 0
		.amdhsa_exception_fp_ieee_inexact 0
		.amdhsa_exception_int_div_zero 0
	.end_amdhsa_kernel
	.section	.text._ZL30rocblas_trtri_remainder_kernelILi16E19rocblas_complex_numIfEPKS1_PS1_Ev13rocblas_fill_17rocblas_diagonal_iT1_lillT2_lilli,"axG",@progbits,_ZL30rocblas_trtri_remainder_kernelILi16E19rocblas_complex_numIfEPKS1_PS1_Ev13rocblas_fill_17rocblas_diagonal_iT1_lillT2_lilli,comdat
.Lfunc_end11:
	.size	_ZL30rocblas_trtri_remainder_kernelILi16E19rocblas_complex_numIfEPKS1_PS1_Ev13rocblas_fill_17rocblas_diagonal_iT1_lillT2_lilli, .Lfunc_end11-_ZL30rocblas_trtri_remainder_kernelILi16E19rocblas_complex_numIfEPKS1_PS1_Ev13rocblas_fill_17rocblas_diagonal_iT1_lillT2_lilli
                                        ; -- End function
	.set _ZL30rocblas_trtri_remainder_kernelILi16E19rocblas_complex_numIfEPKS1_PS1_Ev13rocblas_fill_17rocblas_diagonal_iT1_lillT2_lilli.num_vgpr, 26
	.set _ZL30rocblas_trtri_remainder_kernelILi16E19rocblas_complex_numIfEPKS1_PS1_Ev13rocblas_fill_17rocblas_diagonal_iT1_lillT2_lilli.num_agpr, 0
	.set _ZL30rocblas_trtri_remainder_kernelILi16E19rocblas_complex_numIfEPKS1_PS1_Ev13rocblas_fill_17rocblas_diagonal_iT1_lillT2_lilli.numbered_sgpr, 40
	.set _ZL30rocblas_trtri_remainder_kernelILi16E19rocblas_complex_numIfEPKS1_PS1_Ev13rocblas_fill_17rocblas_diagonal_iT1_lillT2_lilli.num_named_barrier, 0
	.set _ZL30rocblas_trtri_remainder_kernelILi16E19rocblas_complex_numIfEPKS1_PS1_Ev13rocblas_fill_17rocblas_diagonal_iT1_lillT2_lilli.private_seg_size, 0
	.set _ZL30rocblas_trtri_remainder_kernelILi16E19rocblas_complex_numIfEPKS1_PS1_Ev13rocblas_fill_17rocblas_diagonal_iT1_lillT2_lilli.uses_vcc, 1
	.set _ZL30rocblas_trtri_remainder_kernelILi16E19rocblas_complex_numIfEPKS1_PS1_Ev13rocblas_fill_17rocblas_diagonal_iT1_lillT2_lilli.uses_flat_scratch, 0
	.set _ZL30rocblas_trtri_remainder_kernelILi16E19rocblas_complex_numIfEPKS1_PS1_Ev13rocblas_fill_17rocblas_diagonal_iT1_lillT2_lilli.has_dyn_sized_stack, 0
	.set _ZL30rocblas_trtri_remainder_kernelILi16E19rocblas_complex_numIfEPKS1_PS1_Ev13rocblas_fill_17rocblas_diagonal_iT1_lillT2_lilli.has_recursion, 0
	.set _ZL30rocblas_trtri_remainder_kernelILi16E19rocblas_complex_numIfEPKS1_PS1_Ev13rocblas_fill_17rocblas_diagonal_iT1_lillT2_lilli.has_indirect_call, 0
	.section	.AMDGPU.csdata,"",@progbits
; Kernel info:
; codeLenInByte = 2144
; TotalNumSgprs: 42
; NumVgprs: 26
; ScratchSize: 0
; MemoryBound: 0
; FloatMode: 240
; IeeeMode: 1
; LDSByteSize: 8192 bytes/workgroup (compile time only)
; SGPRBlocks: 0
; VGPRBlocks: 3
; NumSGPRsForWavesPerEU: 42
; NumVGPRsForWavesPerEU: 26
; Occupancy: 16
; WaveLimiterHint : 0
; COMPUTE_PGM_RSRC2:SCRATCH_EN: 0
; COMPUTE_PGM_RSRC2:USER_SGPR: 2
; COMPUTE_PGM_RSRC2:TRAP_HANDLER: 0
; COMPUTE_PGM_RSRC2:TGID_X_EN: 1
; COMPUTE_PGM_RSRC2:TGID_Y_EN: 0
; COMPUTE_PGM_RSRC2:TGID_Z_EN: 1
; COMPUTE_PGM_RSRC2:TIDIG_COMP_CNT: 0
	.section	.text._ZL18rocblas_trtri_fillILi128E19rocblas_complex_numIdEPS1_EvP15_rocblas_handle13rocblas_fill_ililT1_llii,"axG",@progbits,_ZL18rocblas_trtri_fillILi128E19rocblas_complex_numIdEPS1_EvP15_rocblas_handle13rocblas_fill_ililT1_llii,comdat
	.globl	_ZL18rocblas_trtri_fillILi128E19rocblas_complex_numIdEPS1_EvP15_rocblas_handle13rocblas_fill_ililT1_llii ; -- Begin function _ZL18rocblas_trtri_fillILi128E19rocblas_complex_numIdEPS1_EvP15_rocblas_handle13rocblas_fill_ililT1_llii
	.p2align	8
	.type	_ZL18rocblas_trtri_fillILi128E19rocblas_complex_numIdEPS1_EvP15_rocblas_handle13rocblas_fill_ililT1_llii,@function
_ZL18rocblas_trtri_fillILi128E19rocblas_complex_numIdEPS1_EvP15_rocblas_handle13rocblas_fill_ililT1_llii: ; @_ZL18rocblas_trtri_fillILi128E19rocblas_complex_numIdEPS1_EvP15_rocblas_handle13rocblas_fill_ililT1_llii
; %bb.0:
	s_load_b64 s[2:3], s[0:1], 0x40
	s_lshr_b32 s16, ttmp7, 16
	s_wait_kmcnt 0x0
	s_cmp_ge_u32 s16, s3
	s_cbranch_scc1 .LBB12_19
; %bb.1:
	s_clause 0x2
	s_load_b128 s[12:15], s[0:1], 0x8
	s_load_b32 s20, s[0:1], 0x18
	s_load_b256 s[4:11], s[0:1], 0x20
	s_ashr_i32 s23, s2, 31
	s_mov_b32 s22, s2
	s_mov_b32 s18, ttmp9
	s_add_nc_u64 s[30:31], s[0:1], 0x48
	s_wait_kmcnt 0x0
	v_cvt_f32_u32_e32 v1, s14
	s_add_co_i32 s17, s13, -2
	s_cvt_f32_u32 s19, s15
	s_lshl_b64 s[26:27], s[8:9], 4
	s_sub_co_i32 s8, 0, s14
	v_rcp_iflag_f32_e32 v3, v1
	v_cvt_f64_i32_e32 v[1:2], s17
	s_cvt_f32_u32 s17, s14
	s_ashr_i32 s9, s13, 31
	s_add_co_i32 s28, s13, -1
	s_mul_u64 s[22:23], s[14:15], s[22:23]
	s_wait_alu 0xfffe
	s_fmamk_f32 s2, s19, 0x4f800000, s17
	s_mov_b32 s19, 0
	s_ashr_i32 s29, s28, 31
	s_lshl_b64 s[24:25], s[18:19], 7
	v_mul_f32_e32 v4, 0x4f7ffffe, v3
	v_s_rcp_f32 s2, s2
	v_or_b32_e32 v3, s24, v0
	s_add_nc_u64 s[6:7], s[6:7], s[26:27]
	s_ashr_i32 s21, s20, 31
	v_cvt_u32_f32_e32 v0, v4
	v_mov_b32_e32 v4, s25
	s_sub_nc_u64 s[34:35], 0, s[14:15]
	s_mul_f32 s17, s2, 0x5f7ffffc
	s_delay_alu instid0(VALU_DEP_2) | instskip(SKIP_4) | instid1(SALU_CYCLE_1)
	v_mul_lo_u32 v5, s8, v0
	s_mov_b32 s8, s13
	s_wait_alu 0xfffe
	s_mul_f32 s2, s17, 0x2f800000
	s_mul_u64 s[28:29], s[28:29], s[8:9]
	s_lshl_b64 s[24:25], s[28:29], 2
	s_wait_alu 0xfffe
	s_trunc_f32 s13, s2
	v_cmp_gt_u64_e64 s2, s[22:23], v[3:4]
	v_mul_hi_u32 v6, v0, v5
	v_mov_b32_e32 v5, 0
	s_fmamk_f32 s17, s13, 0xcf800000, s17
	s_lshr_b64 s[26:27], s[28:29], 1
	s_cvt_u32_f32 s29, s13
	s_add_nc_u64 s[24:25], s[24:25], -7
	s_wait_alu 0xfffe
	s_cvt_u32_f32 s28, s17
	v_add_nc_u32_e32 v0, v0, v6
	s_branch .LBB12_3
.LBB12_2:                               ;   in Loop: Header=BB12_3 Depth=1
	s_wait_alu 0xfffe
	s_or_b32 exec_lo, exec_lo, s1
	s_add_co_i32 s16, s16, 0x10000
	s_wait_alu 0xfffe
	s_cmp_lt_u32 s16, s3
	s_cbranch_scc0 .LBB12_19
.LBB12_3:                               ; =>This Loop Header: Depth=1
                                        ;     Child Loop BB12_6 Depth 2
	s_and_saveexec_b32 s1, s2
	s_cbranch_execz .LBB12_2
; %bb.4:                                ;   in Loop: Header=BB12_3 Depth=1
	s_clause 0x1
	s_load_b32 s0, s[30:31], 0xc
	s_load_b32 s18, s[30:31], 0x0
	s_mov_b32 s17, s19
	v_dual_mov_b32 v8, v4 :: v_dual_mov_b32 v7, v3
	s_wait_alu 0xfffe
	s_mul_u64 s[38:39], s[10:11], s[16:17]
	s_mov_b32 s37, s19
	s_wait_alu 0xfffe
	s_lshl_b64 s[38:39], s[38:39], 4
	s_mov_b32 s13, 0
	s_wait_alu 0xfffe
	s_add_nc_u64 s[38:39], s[6:7], s[38:39]
	s_wait_kmcnt 0x0
	s_and_b32 s36, s0, 0xffff
	s_wait_alu 0xfffe
	s_mul_u64 s[36:37], s[36:37], s[18:19]
	s_branch .LBB12_6
.LBB12_5:                               ;   in Loop: Header=BB12_6 Depth=2
	v_add_co_u32 v7, vcc_lo, v7, s36
	s_wait_alu 0xfffd
	v_add_co_ci_u32_e64 v8, null, s37, v8, vcc_lo
	s_delay_alu instid0(VALU_DEP_1) | instskip(SKIP_1) | instid1(SALU_CYCLE_1)
	v_cmp_le_u64_e32 vcc_lo, s[22:23], v[7:8]
	s_or_b32 s13, vcc_lo, s13
	s_and_not1_b32 exec_lo, exec_lo, s13
	s_cbranch_execz .LBB12_2
.LBB12_6:                               ;   Parent Loop BB12_3 Depth=1
                                        ; =>  This Inner Loop Header: Depth=2
	v_or_b32_e32 v6, s15, v8
                                        ; implicit-def: $vgpr9_vgpr10
	s_mov_b32 s0, exec_lo
	s_delay_alu instid0(VALU_DEP_1)
	v_cmpx_ne_u64_e32 0, v[5:6]
	s_wait_alu 0xfffe
	s_xor_b32 s17, exec_lo, s0
	s_cbranch_execz .LBB12_8
; %bb.7:                                ;   in Loop: Header=BB12_6 Depth=2
	s_mul_u64 s[40:41], s[34:35], s[28:29]
	s_delay_alu instid0(SALU_CYCLE_1)
	s_mul_hi_u32 s43, s28, s41
	s_mul_i32 s42, s28, s41
	s_mul_hi_u32 s18, s28, s40
	s_mul_hi_u32 s0, s29, s40
	s_wait_alu 0xfffe
	s_add_nc_u64 s[42:43], s[18:19], s[42:43]
	s_mul_i32 s18, s29, s40
	s_mul_hi_u32 s33, s29, s41
	s_wait_alu 0xfffe
	s_add_co_u32 s18, s42, s18
	s_add_co_ci_u32 s18, s43, s0
	s_add_co_ci_u32 s43, s33, 0
	s_mul_i32 s42, s29, s41
	s_wait_alu 0xfffe
	s_add_nc_u64 s[40:41], s[18:19], s[42:43]
	s_delay_alu instid0(SALU_CYCLE_1) | instskip(SKIP_4) | instid1(SALU_CYCLE_1)
	s_add_co_u32 s40, s28, s40
	s_cselect_b32 s0, -1, 0
	s_wait_alu 0xfffe
	s_cmp_lg_u32 s0, 0
	s_add_co_ci_u32 s41, s29, s41
	s_mul_u64 s[42:43], s[34:35], s[40:41]
	s_delay_alu instid0(SALU_CYCLE_1)
	s_mul_hi_u32 s45, s40, s43
	s_mul_i32 s44, s40, s43
	s_mul_hi_u32 s18, s40, s42
	s_mul_i32 s33, s41, s42
	s_wait_alu 0xfffe
	s_add_nc_u64 s[44:45], s[18:19], s[44:45]
	s_mul_hi_u32 s0, s41, s42
	s_mul_hi_u32 s46, s41, s43
	s_add_co_u32 s18, s44, s33
	s_wait_alu 0xfffe
	s_add_co_ci_u32 s18, s45, s0
	s_mul_i32 s42, s41, s43
	s_add_co_ci_u32 s43, s46, 0
	s_wait_alu 0xfffe
	s_add_nc_u64 s[42:43], s[18:19], s[42:43]
	s_delay_alu instid0(SALU_CYCLE_1)
	s_add_co_u32 s0, s40, s42
	s_cselect_b32 s18, -1, 0
	s_wait_alu 0xfffe
	v_mul_hi_u32 v6, v7, s0
	s_cmp_lg_u32 s18, 0
	v_mad_co_u64_u32 v[11:12], null, v8, s0, 0
	s_add_co_ci_u32 s18, s41, s43
	s_wait_alu 0xfffe
	v_mad_co_u64_u32 v[9:10], null, v7, s18, 0
	v_mad_co_u64_u32 v[13:14], null, v8, s18, 0
	s_delay_alu instid0(VALU_DEP_2) | instskip(SKIP_1) | instid1(VALU_DEP_3)
	v_add_co_u32 v6, vcc_lo, v6, v9
	s_wait_alu 0xfffd
	v_add_co_ci_u32_e64 v9, null, 0, v10, vcc_lo
	s_delay_alu instid0(VALU_DEP_2) | instskip(SKIP_1) | instid1(VALU_DEP_2)
	v_add_co_u32 v6, vcc_lo, v6, v11
	s_wait_alu 0xfffd
	v_add_co_ci_u32_e32 v6, vcc_lo, v9, v12, vcc_lo
	s_wait_alu 0xfffd
	v_add_co_ci_u32_e32 v9, vcc_lo, 0, v14, vcc_lo
	s_delay_alu instid0(VALU_DEP_2) | instskip(SKIP_1) | instid1(VALU_DEP_2)
	v_add_co_u32 v6, vcc_lo, v6, v13
	s_wait_alu 0xfffd
	v_add_co_ci_u32_e64 v11, null, 0, v9, vcc_lo
	s_delay_alu instid0(VALU_DEP_2) | instskip(SKIP_1) | instid1(VALU_DEP_3)
	v_mul_lo_u32 v12, s15, v6
	v_mad_co_u64_u32 v[9:10], null, s14, v6, 0
	v_mul_lo_u32 v13, s14, v11
	s_delay_alu instid0(VALU_DEP_2) | instskip(NEXT) | instid1(VALU_DEP_2)
	v_sub_co_u32 v9, vcc_lo, v7, v9
	v_add3_u32 v10, v10, v13, v12
	v_add_co_u32 v13, s0, v6, 2
	s_wait_alu 0xf1ff
	v_add_co_ci_u32_e64 v14, null, 0, v11, s0
	s_delay_alu instid0(VALU_DEP_3) | instskip(SKIP_3) | instid1(VALU_DEP_3)
	v_sub_nc_u32_e32 v12, v8, v10
	v_sub_co_u32 v15, s0, v9, s14
	s_wait_alu 0xfffd
	v_sub_co_ci_u32_e64 v10, null, v8, v10, vcc_lo
	v_subrev_co_ci_u32_e64 v12, null, s15, v12, vcc_lo
	s_delay_alu instid0(VALU_DEP_3) | instskip(SKIP_1) | instid1(VALU_DEP_2)
	v_cmp_le_u32_e32 vcc_lo, s14, v15
	s_wait_alu 0xf1ff
	v_subrev_co_ci_u32_e64 v12, null, 0, v12, s0
	s_wait_alu 0xfffd
	v_cndmask_b32_e64 v15, 0, -1, vcc_lo
	v_cmp_eq_u32_e64 s0, s15, v10
	s_delay_alu instid0(VALU_DEP_3)
	v_cmp_le_u32_e32 vcc_lo, s15, v12
	s_wait_alu 0xfffd
	v_cndmask_b32_e64 v16, 0, -1, vcc_lo
	v_cmp_le_u32_e32 vcc_lo, s14, v9
	s_wait_alu 0xfffd
	v_cndmask_b32_e64 v9, 0, -1, vcc_lo
	;; [unrolled: 3-line block ×3, first 2 shown]
	v_cmp_eq_u32_e32 vcc_lo, s15, v12
	s_wait_alu 0xf1ff
	s_delay_alu instid0(VALU_DEP_2)
	v_cndmask_b32_e64 v9, v17, v9, s0
	s_wait_alu 0xfffd
	v_cndmask_b32_e32 v12, v16, v15, vcc_lo
	v_add_co_u32 v15, vcc_lo, v6, 1
	s_wait_alu 0xfffd
	v_add_co_ci_u32_e64 v16, null, 0, v11, vcc_lo
	s_delay_alu instid0(VALU_DEP_3) | instskip(SKIP_2) | instid1(VALU_DEP_3)
	v_cmp_ne_u32_e32 vcc_lo, 0, v12
	s_wait_alu 0xfffd
	v_cndmask_b32_e32 v12, v15, v13, vcc_lo
	v_cndmask_b32_e32 v10, v16, v14, vcc_lo
	v_cmp_ne_u32_e32 vcc_lo, 0, v9
	s_wait_alu 0xfffd
	s_delay_alu instid0(VALU_DEP_2)
	v_dual_cndmask_b32 v9, v6, v12 :: v_dual_cndmask_b32 v10, v11, v10
.LBB12_8:                               ;   in Loop: Header=BB12_6 Depth=2
	s_wait_alu 0xfffe
	s_and_not1_saveexec_b32 s0, s17
	s_cbranch_execz .LBB12_10
; %bb.9:                                ;   in Loop: Header=BB12_6 Depth=2
	v_mul_hi_u32 v6, v7, v0
	s_delay_alu instid0(VALU_DEP_1) | instskip(NEXT) | instid1(VALU_DEP_1)
	v_mul_lo_u32 v9, v6, s14
	v_sub_nc_u32_e32 v9, v7, v9
	s_delay_alu instid0(VALU_DEP_1) | instskip(SKIP_2) | instid1(VALU_DEP_2)
	v_subrev_nc_u32_e32 v11, s14, v9
	v_cmp_le_u32_e32 vcc_lo, s14, v9
	s_wait_alu 0xfffd
	v_dual_cndmask_b32 v9, v9, v11 :: v_dual_add_nc_u32 v10, 1, v6
	s_delay_alu instid0(VALU_DEP_1) | instskip(NEXT) | instid1(VALU_DEP_2)
	v_cndmask_b32_e32 v6, v6, v10, vcc_lo
	v_cmp_le_u32_e32 vcc_lo, s14, v9
	s_delay_alu instid0(VALU_DEP_2) | instskip(SKIP_1) | instid1(VALU_DEP_1)
	v_add_nc_u32_e32 v10, 1, v6
	s_wait_alu 0xfffd
	v_dual_cndmask_b32 v9, v6, v10 :: v_dual_mov_b32 v10, v5
.LBB12_10:                              ;   in Loop: Header=BB12_6 Depth=2
	s_wait_alu 0xfffe
	s_or_b32 exec_lo, exec_lo, s0
	s_delay_alu instid0(VALU_DEP_1) | instskip(NEXT) | instid1(VALU_DEP_2)
	v_mul_lo_u32 v6, v10, s14
	v_mul_lo_u32 v13, v9, s15
	v_mad_co_u64_u32 v[11:12], null, v9, s14, 0
	s_cmp_lt_i32 s12, 0x7a
	v_add3_u32 v6, v12, v13, v6
	v_sub_co_u32 v11, vcc_lo, v7, v11
	s_wait_alu 0xfffd
	s_delay_alu instid0(VALU_DEP_2)
	v_sub_co_ci_u32_e64 v12, null, v8, v6, vcc_lo
	s_cbranch_scc1 .LBB12_13
; %bb.11:                               ;   in Loop: Header=BB12_6 Depth=2
	s_mov_b32 s0, 0
	s_cmp_eq_u32 s12, 0x7a
	s_mov_b32 s17, 0
                                        ; implicit-def: $vgpr13_vgpr14
	s_cbranch_scc0 .LBB12_14
; %bb.12:                               ;   in Loop: Header=BB12_6 Depth=2
	v_lshlrev_b64_e32 v[13:14], 3, v[11:12]
	s_mov_b32 s17, -1
	s_delay_alu instid0(VALU_DEP_1) | instskip(SKIP_1) | instid1(VALU_DEP_2)
	v_sub_co_u32 v6, vcc_lo, s24, v13
	s_wait_alu 0xfffd
	v_sub_co_ci_u32_e64 v13, null, s25, v14, vcc_lo
	s_delay_alu instid0(VALU_DEP_2) | instskip(NEXT) | instid1(VALU_DEP_2)
	v_cvt_f64_u32_e32 v[15:16], v6
	v_cvt_f64_u32_e32 v[13:14], v13
	s_delay_alu instid0(VALU_DEP_1) | instskip(NEXT) | instid1(VALU_DEP_1)
	v_ldexp_f64 v[13:14], v[13:14], 32
	v_add_f64_e32 v[13:14], v[13:14], v[15:16]
	s_delay_alu instid0(VALU_DEP_1) | instskip(SKIP_2) | instid1(VALU_DEP_1)
	v_cmp_gt_f64_e32 vcc_lo, 0x10000000, v[13:14]
	s_wait_alu 0xfffd
	v_cndmask_b32_e64 v6, 0, 0x100, vcc_lo
	v_ldexp_f64 v[13:14], v[13:14], v6
	v_cndmask_b32_e64 v6, 0, 0xffffff80, vcc_lo
	s_delay_alu instid0(VALU_DEP_2) | instskip(SKIP_1) | instid1(TRANS32_DEP_1)
	v_rsq_f64_e32 v[15:16], v[13:14]
	v_cmp_class_f64_e64 vcc_lo, v[13:14], 0x260
	v_mul_f64_e32 v[17:18], v[13:14], v[15:16]
	v_mul_f64_e32 v[15:16], 0.5, v[15:16]
	s_delay_alu instid0(VALU_DEP_1) | instskip(NEXT) | instid1(VALU_DEP_1)
	v_fma_f64 v[19:20], -v[15:16], v[17:18], 0.5
	v_fma_f64 v[17:18], v[17:18], v[19:20], v[17:18]
	v_fma_f64 v[15:16], v[15:16], v[19:20], v[15:16]
	s_delay_alu instid0(VALU_DEP_2) | instskip(NEXT) | instid1(VALU_DEP_1)
	v_fma_f64 v[19:20], -v[17:18], v[17:18], v[13:14]
	v_fma_f64 v[17:18], v[19:20], v[15:16], v[17:18]
	s_delay_alu instid0(VALU_DEP_1) | instskip(NEXT) | instid1(VALU_DEP_1)
	v_fma_f64 v[19:20], -v[17:18], v[17:18], v[13:14]
	v_fma_f64 v[15:16], v[19:20], v[15:16], v[17:18]
	s_delay_alu instid0(VALU_DEP_1) | instskip(SKIP_2) | instid1(VALU_DEP_2)
	v_ldexp_f64 v[15:16], v[15:16], v6
	v_mul_lo_u32 v6, v10, s4
	s_wait_alu 0xfffd
	v_dual_cndmask_b32 v14, v16, v14 :: v_dual_cndmask_b32 v13, v15, v13
	s_delay_alu instid0(VALU_DEP_1) | instskip(NEXT) | instid1(VALU_DEP_1)
	v_fma_f64 v[13:14], v[13:14], 0.5, -0.5
	v_floor_f64_e32 v[13:14], v[13:14]
	s_delay_alu instid0(VALU_DEP_1) | instskip(NEXT) | instid1(VALU_DEP_1)
	v_add_f64_e64 v[13:14], v[1:2], -v[13:14]
	v_trunc_f64_e32 v[13:14], v[13:14]
	s_delay_alu instid0(VALU_DEP_1) | instskip(NEXT) | instid1(VALU_DEP_1)
	v_ldexp_f64 v[15:16], v[13:14], 0xffffffe0
	v_floor_f64_e32 v[15:16], v[15:16]
	s_delay_alu instid0(VALU_DEP_1) | instskip(SKIP_2) | instid1(VALU_DEP_3)
	v_fma_f64 v[13:14], 0xc1f00000, v[15:16], v[13:14]
	v_cvt_u32_f64_e32 v15, v[15:16]
	v_mad_co_u64_u32 v[16:17], null, v9, s4, 0
	v_cvt_u32_f64_e32 v14, v[13:14]
	v_mul_lo_u32 v13, v9, s5
	s_delay_alu instid0(VALU_DEP_1) | instskip(SKIP_1) | instid1(VALU_DEP_2)
	v_add3_u32 v17, v17, v13, v6
	v_mul_lo_u32 v6, v15, s20
	v_lshlrev_b64_e32 v[16:17], 4, v[16:17]
	v_sub_co_u32 v13, vcc_lo, s8, v14
	s_wait_alu 0xfffd
	v_sub_co_ci_u32_e64 v22, null, s9, v15, vcc_lo
	v_mul_lo_u32 v23, v14, s21
	v_mad_co_u64_u32 v[18:19], null, v14, s20, 0
	v_add_co_u32 v24, vcc_lo, v13, -1
	s_wait_alu 0xfffd
	v_add_co_ci_u32_e64 v25, null, -1, v22, vcc_lo
	v_sub_co_u32 v20, vcc_lo, v11, s26
	s_delay_alu instid0(VALU_DEP_4) | instskip(NEXT) | instid1(VALU_DEP_3)
	v_add3_u32 v19, v19, v23, v6
	v_mul_lo_u32 v6, v25, v13
	v_mul_lo_u32 v25, v24, v22
	v_mad_co_u64_u32 v[22:23], null, v24, v13, 0
	s_wait_alu 0xfffd
	v_subrev_co_ci_u32_e64 v21, null, s27, v12, vcc_lo
	v_lshlrev_b64_e32 v[18:19], 4, v[18:19]
	v_add_co_u32 v13, vcc_lo, s38, v16
	s_wait_alu 0xfffd
	v_add_co_ci_u32_e64 v16, null, s39, v17, vcc_lo
	v_lshlrev_b64_e32 v[20:21], 4, v[20:21]
	v_add3_u32 v23, v23, v25, v6
	v_add_co_u32 v6, vcc_lo, v13, v18
	s_wait_alu 0xfffd
	v_add_co_ci_u32_e64 v18, null, v16, v19, vcc_lo
	s_delay_alu instid0(VALU_DEP_3) | instskip(SKIP_4) | instid1(VALU_DEP_4)
	v_lshlrev_b64_e32 v[16:17], 3, v[22:23]
	v_lshlrev_b64_e32 v[13:14], 4, v[14:15]
	v_add_co_u32 v6, vcc_lo, v6, v20
	s_wait_alu 0xfffd
	v_add_co_ci_u32_e64 v15, null, v18, v21, vcc_lo
	v_and_b32_e32 v16, -16, v16
	s_delay_alu instid0(VALU_DEP_3) | instskip(SKIP_1) | instid1(VALU_DEP_3)
	v_add_co_u32 v6, vcc_lo, v6, v13
	s_wait_alu 0xfffd
	v_add_co_ci_u32_e64 v13, null, v15, v14, vcc_lo
	s_delay_alu instid0(VALU_DEP_2) | instskip(SKIP_1) | instid1(VALU_DEP_2)
	v_add_co_u32 v15, vcc_lo, v6, v16
	s_wait_alu 0xfffd
	v_add_co_ci_u32_e64 v16, null, v13, v17, vcc_lo
	v_mov_b32_e32 v6, v5
	s_delay_alu instid0(VALU_DEP_3) | instskip(SKIP_1) | instid1(VALU_DEP_3)
	v_add_co_u32 v13, vcc_lo, v15, 16
	s_wait_alu 0xfffd
	v_add_co_ci_u32_e64 v14, null, 0, v16, vcc_lo
	global_store_b64 v[15:16], v[5:6], off offset:16
	s_branch .LBB12_14
.LBB12_13:                              ;   in Loop: Header=BB12_6 Depth=2
	s_mov_b32 s0, -1
	s_mov_b32 s17, 0
                                        ; implicit-def: $vgpr13_vgpr14
.LBB12_14:                              ;   in Loop: Header=BB12_6 Depth=2
	s_wait_alu 0xfffe
	s_and_b32 vcc_lo, exec_lo, s0
	s_wait_alu 0xfffe
	s_cbranch_vccz .LBB12_17
; %bb.15:                               ;   in Loop: Header=BB12_6 Depth=2
	s_cmp_eq_u32 s12, 0x79
                                        ; implicit-def: $vgpr13_vgpr14
	s_cbranch_scc0 .LBB12_17
; %bb.16:                               ;   in Loop: Header=BB12_6 Depth=2
	v_lshlrev_b64_e32 v[13:14], 3, v[11:12]
	s_mov_b32 s17, -1
	s_delay_alu instid0(VALU_DEP_1) | instskip(NEXT) | instid1(VALU_DEP_2)
	v_cvt_f64_u32_e32 v[14:15], v14
	v_or_b32_e32 v6, 1, v13
	s_delay_alu instid0(VALU_DEP_1) | instskip(NEXT) | instid1(VALU_DEP_3)
	v_cvt_f64_u32_e32 v[16:17], v6
	v_ldexp_f64 v[13:14], v[14:15], 32
	s_delay_alu instid0(VALU_DEP_1) | instskip(NEXT) | instid1(VALU_DEP_1)
	v_add_f64_e32 v[13:14], v[13:14], v[16:17]
	v_cmp_gt_f64_e32 vcc_lo, 0x10000000, v[13:14]
	s_wait_alu 0xfffd
	v_cndmask_b32_e64 v6, 0, 0x100, vcc_lo
	s_delay_alu instid0(VALU_DEP_1) | instskip(SKIP_1) | instid1(VALU_DEP_2)
	v_ldexp_f64 v[13:14], v[13:14], v6
	v_cndmask_b32_e64 v6, 0, 0xffffff80, vcc_lo
	v_rsq_f64_e32 v[15:16], v[13:14]
	v_cmp_class_f64_e64 vcc_lo, v[13:14], 0x260
	s_delay_alu instid0(TRANS32_DEP_1) | instskip(SKIP_1) | instid1(VALU_DEP_1)
	v_mul_f64_e32 v[17:18], v[13:14], v[15:16]
	v_mul_f64_e32 v[15:16], 0.5, v[15:16]
	v_fma_f64 v[19:20], -v[15:16], v[17:18], 0.5
	s_delay_alu instid0(VALU_DEP_1) | instskip(SKIP_1) | instid1(VALU_DEP_2)
	v_fma_f64 v[17:18], v[17:18], v[19:20], v[17:18]
	v_fma_f64 v[15:16], v[15:16], v[19:20], v[15:16]
	v_fma_f64 v[19:20], -v[17:18], v[17:18], v[13:14]
	s_delay_alu instid0(VALU_DEP_1) | instskip(NEXT) | instid1(VALU_DEP_1)
	v_fma_f64 v[17:18], v[19:20], v[15:16], v[17:18]
	v_fma_f64 v[19:20], -v[17:18], v[17:18], v[13:14]
	s_delay_alu instid0(VALU_DEP_1) | instskip(SKIP_1) | instid1(VALU_DEP_2)
	v_fma_f64 v[15:16], v[19:20], v[15:16], v[17:18]
	v_mul_lo_u32 v18, v9, s5
	v_ldexp_f64 v[15:16], v[15:16], v6
	v_mul_lo_u32 v6, v10, s4
	v_mad_co_u64_u32 v[9:10], null, v9, s4, 0
	s_delay_alu instid0(VALU_DEP_1) | instskip(NEXT) | instid1(VALU_DEP_1)
	v_add3_u32 v10, v10, v18, v6
	v_lshlrev_b64_e32 v[9:10], 4, v[9:10]
	s_wait_alu 0xfffd
	v_dual_cndmask_b32 v14, v16, v14 :: v_dual_cndmask_b32 v13, v15, v13
	s_delay_alu instid0(VALU_DEP_1) | instskip(NEXT) | instid1(VALU_DEP_1)
	v_add_f64_e32 v[13:14], -1.0, v[13:14]
	v_mul_f64_e32 v[13:14], 0.5, v[13:14]
	s_delay_alu instid0(VALU_DEP_1) | instskip(NEXT) | instid1(VALU_DEP_1)
	v_trunc_f64_e32 v[13:14], v[13:14]
	v_ldexp_f64 v[15:16], v[13:14], 0xffffffe0
	s_delay_alu instid0(VALU_DEP_1) | instskip(NEXT) | instid1(VALU_DEP_1)
	v_floor_f64_e32 v[15:16], v[15:16]
	v_fma_f64 v[13:14], 0xc1f00000, v[15:16], v[13:14]
	v_cvt_u32_f64_e32 v15, v[15:16]
	s_delay_alu instid0(VALU_DEP_2) | instskip(NEXT) | instid1(VALU_DEP_1)
	v_cvt_u32_f64_e32 v14, v[13:14]
	v_mad_co_u64_u32 v[16:17], null, v14, v14, v[14:15]
	v_mul_lo_u32 v19, v14, v15
	v_mul_lo_u32 v15, s20, v15
	;; [unrolled: 1-line block ×3, first 2 shown]
	v_mad_co_u64_u32 v[13:14], null, s20, v14, s[20:21]
	s_delay_alu instid0(VALU_DEP_4) | instskip(NEXT) | instid1(VALU_DEP_2)
	v_add3_u32 v17, v19, v17, v19
	v_add3_u32 v14, v20, v14, v15
	s_delay_alu instid0(VALU_DEP_2) | instskip(NEXT) | instid1(VALU_DEP_2)
	v_lshrrev_b64 v[15:16], 1, v[16:17]
	v_lshlrev_b64_e32 v[13:14], 4, v[13:14]
	s_delay_alu instid0(VALU_DEP_2) | instskip(SKIP_1) | instid1(VALU_DEP_3)
	v_sub_co_u32 v11, vcc_lo, v11, v15
	s_wait_alu 0xfffd
	v_sub_co_ci_u32_e64 v12, null, v12, v16, vcc_lo
	v_add_co_u32 v6, vcc_lo, s38, v9
	s_wait_alu 0xfffd
	v_add_co_ci_u32_e64 v15, null, s39, v10, vcc_lo
	s_delay_alu instid0(VALU_DEP_3) | instskip(NEXT) | instid1(VALU_DEP_3)
	v_lshlrev_b64_e32 v[9:10], 4, v[11:12]
	v_add_co_u32 v6, vcc_lo, v6, v13
	s_wait_alu 0xfffd
	s_delay_alu instid0(VALU_DEP_3) | instskip(NEXT) | instid1(VALU_DEP_2)
	v_add_co_ci_u32_e64 v11, null, v15, v14, vcc_lo
	v_add_co_u32 v13, vcc_lo, v6, v9
	s_wait_alu 0xfffd
	s_delay_alu instid0(VALU_DEP_2)
	v_add_co_ci_u32_e64 v14, null, v11, v10, vcc_lo
	v_mov_b32_e32 v6, v5
	global_store_b64 v[13:14], v[5:6], off
.LBB12_17:                              ;   in Loop: Header=BB12_6 Depth=2
	s_wait_alu 0xfffe
	s_and_b32 vcc_lo, exec_lo, s17
	s_wait_alu 0xfffe
	s_cbranch_vccz .LBB12_5
; %bb.18:                               ;   in Loop: Header=BB12_6 Depth=2
	v_mov_b32_e32 v6, v5
	global_store_b64 v[13:14], v[5:6], off offset:8
	s_branch .LBB12_5
.LBB12_19:
	s_endpgm
	.section	.rodata,"a",@progbits
	.p2align	6, 0x0
	.amdhsa_kernel _ZL18rocblas_trtri_fillILi128E19rocblas_complex_numIdEPS1_EvP15_rocblas_handle13rocblas_fill_ililT1_llii
		.amdhsa_group_segment_fixed_size 0
		.amdhsa_private_segment_fixed_size 0
		.amdhsa_kernarg_size 328
		.amdhsa_user_sgpr_count 2
		.amdhsa_user_sgpr_dispatch_ptr 0
		.amdhsa_user_sgpr_queue_ptr 0
		.amdhsa_user_sgpr_kernarg_segment_ptr 1
		.amdhsa_user_sgpr_dispatch_id 0
		.amdhsa_user_sgpr_private_segment_size 0
		.amdhsa_wavefront_size32 1
		.amdhsa_uses_dynamic_stack 0
		.amdhsa_enable_private_segment 0
		.amdhsa_system_sgpr_workgroup_id_x 1
		.amdhsa_system_sgpr_workgroup_id_y 0
		.amdhsa_system_sgpr_workgroup_id_z 1
		.amdhsa_system_sgpr_workgroup_info 0
		.amdhsa_system_vgpr_workitem_id 0
		.amdhsa_next_free_vgpr 26
		.amdhsa_next_free_sgpr 47
		.amdhsa_reserve_vcc 1
		.amdhsa_float_round_mode_32 0
		.amdhsa_float_round_mode_16_64 0
		.amdhsa_float_denorm_mode_32 3
		.amdhsa_float_denorm_mode_16_64 3
		.amdhsa_fp16_overflow 0
		.amdhsa_workgroup_processor_mode 1
		.amdhsa_memory_ordered 1
		.amdhsa_forward_progress 1
		.amdhsa_inst_pref_size 20
		.amdhsa_round_robin_scheduling 0
		.amdhsa_exception_fp_ieee_invalid_op 0
		.amdhsa_exception_fp_denorm_src 0
		.amdhsa_exception_fp_ieee_div_zero 0
		.amdhsa_exception_fp_ieee_overflow 0
		.amdhsa_exception_fp_ieee_underflow 0
		.amdhsa_exception_fp_ieee_inexact 0
		.amdhsa_exception_int_div_zero 0
	.end_amdhsa_kernel
	.section	.text._ZL18rocblas_trtri_fillILi128E19rocblas_complex_numIdEPS1_EvP15_rocblas_handle13rocblas_fill_ililT1_llii,"axG",@progbits,_ZL18rocblas_trtri_fillILi128E19rocblas_complex_numIdEPS1_EvP15_rocblas_handle13rocblas_fill_ililT1_llii,comdat
.Lfunc_end12:
	.size	_ZL18rocblas_trtri_fillILi128E19rocblas_complex_numIdEPS1_EvP15_rocblas_handle13rocblas_fill_ililT1_llii, .Lfunc_end12-_ZL18rocblas_trtri_fillILi128E19rocblas_complex_numIdEPS1_EvP15_rocblas_handle13rocblas_fill_ililT1_llii
                                        ; -- End function
	.set _ZL18rocblas_trtri_fillILi128E19rocblas_complex_numIdEPS1_EvP15_rocblas_handle13rocblas_fill_ililT1_llii.num_vgpr, 26
	.set _ZL18rocblas_trtri_fillILi128E19rocblas_complex_numIdEPS1_EvP15_rocblas_handle13rocblas_fill_ililT1_llii.num_agpr, 0
	.set _ZL18rocblas_trtri_fillILi128E19rocblas_complex_numIdEPS1_EvP15_rocblas_handle13rocblas_fill_ililT1_llii.numbered_sgpr, 47
	.set _ZL18rocblas_trtri_fillILi128E19rocblas_complex_numIdEPS1_EvP15_rocblas_handle13rocblas_fill_ililT1_llii.num_named_barrier, 0
	.set _ZL18rocblas_trtri_fillILi128E19rocblas_complex_numIdEPS1_EvP15_rocblas_handle13rocblas_fill_ililT1_llii.private_seg_size, 0
	.set _ZL18rocblas_trtri_fillILi128E19rocblas_complex_numIdEPS1_EvP15_rocblas_handle13rocblas_fill_ililT1_llii.uses_vcc, 1
	.set _ZL18rocblas_trtri_fillILi128E19rocblas_complex_numIdEPS1_EvP15_rocblas_handle13rocblas_fill_ililT1_llii.uses_flat_scratch, 0
	.set _ZL18rocblas_trtri_fillILi128E19rocblas_complex_numIdEPS1_EvP15_rocblas_handle13rocblas_fill_ililT1_llii.has_dyn_sized_stack, 0
	.set _ZL18rocblas_trtri_fillILi128E19rocblas_complex_numIdEPS1_EvP15_rocblas_handle13rocblas_fill_ililT1_llii.has_recursion, 0
	.set _ZL18rocblas_trtri_fillILi128E19rocblas_complex_numIdEPS1_EvP15_rocblas_handle13rocblas_fill_ililT1_llii.has_indirect_call, 0
	.section	.AMDGPU.csdata,"",@progbits
; Kernel info:
; codeLenInByte = 2484
; TotalNumSgprs: 49
; NumVgprs: 26
; ScratchSize: 0
; MemoryBound: 0
; FloatMode: 240
; IeeeMode: 1
; LDSByteSize: 0 bytes/workgroup (compile time only)
; SGPRBlocks: 0
; VGPRBlocks: 3
; NumSGPRsForWavesPerEU: 49
; NumVGPRsForWavesPerEU: 26
; Occupancy: 16
; WaveLimiterHint : 0
; COMPUTE_PGM_RSRC2:SCRATCH_EN: 0
; COMPUTE_PGM_RSRC2:USER_SGPR: 2
; COMPUTE_PGM_RSRC2:TRAP_HANDLER: 0
; COMPUTE_PGM_RSRC2:TGID_X_EN: 1
; COMPUTE_PGM_RSRC2:TGID_Y_EN: 0
; COMPUTE_PGM_RSRC2:TGID_Z_EN: 1
; COMPUTE_PGM_RSRC2:TIDIG_COMP_CNT: 0
	.section	.text._ZL26rocblas_trtri_small_kernelILi16E19rocblas_complex_numIdEPKS1_PS1_Ev13rocblas_fill_17rocblas_diagonal_iT1_lillT2_lilli,"axG",@progbits,_ZL26rocblas_trtri_small_kernelILi16E19rocblas_complex_numIdEPKS1_PS1_Ev13rocblas_fill_17rocblas_diagonal_iT1_lillT2_lilli,comdat
	.globl	_ZL26rocblas_trtri_small_kernelILi16E19rocblas_complex_numIdEPKS1_PS1_Ev13rocblas_fill_17rocblas_diagonal_iT1_lillT2_lilli ; -- Begin function _ZL26rocblas_trtri_small_kernelILi16E19rocblas_complex_numIdEPKS1_PS1_Ev13rocblas_fill_17rocblas_diagonal_iT1_lillT2_lilli
	.p2align	8
	.type	_ZL26rocblas_trtri_small_kernelILi16E19rocblas_complex_numIdEPKS1_PS1_Ev13rocblas_fill_17rocblas_diagonal_iT1_lillT2_lilli,@function
_ZL26rocblas_trtri_small_kernelILi16E19rocblas_complex_numIdEPKS1_PS1_Ev13rocblas_fill_17rocblas_diagonal_iT1_lillT2_lilli: ; @_ZL26rocblas_trtri_small_kernelILi16E19rocblas_complex_numIdEPKS1_PS1_Ev13rocblas_fill_17rocblas_diagonal_iT1_lillT2_lilli
; %bb.0:
	s_load_b32 s23, s[0:1], 0x60
	s_lshr_b32 s2, ttmp7, 16
	s_wait_kmcnt 0x0
	s_cmp_ge_u32 s2, s23
	s_cbranch_scc1 .LBB13_43
; %bb.1:
	s_clause 0x5
	s_load_b32 s28, s[0:1], 0x20
	s_load_b32 s30, s[0:1], 0x48
	s_load_b96 s[20:22], s[0:1], 0x0
	s_load_b256 s[4:11], s[0:1], 0x28
	s_load_b128 s[16:19], s[0:1], 0x10
	s_load_b128 s[12:15], s[0:1], 0x50
	s_mov_b32 s3, 0
	s_mov_b32 s26, ttmp9
	s_mov_b32 s27, s3
	s_mov_b32 s35, s3
	v_lshlrev_b32_e32 v9, 4, v0
	v_add_nc_u32_e32 v14, 1, v0
	s_wait_kmcnt 0x0
	s_ashr_i32 s29, s28, 31
	s_ashr_i32 s31, s30, 31
	s_cmp_gt_i32 s22, 0
	s_mul_u64 s[6:7], s[6:7], s[26:27]
	s_cselect_b32 s24, -1, 0
	s_cmp_lg_u32 s20, 0x7a
	s_mul_u64 s[14:15], s[14:15], s[26:27]
	s_cselect_b32 s20, -1, 0
	s_add_co_i32 s34, s22, -1
	s_cmp_lg_u32 s21, 0x84
	s_mul_u64 s[36:37], s[28:29], s[34:35]
	s_cselect_b32 s21, -1, 0
	s_lshl_b64 s[6:7], s[6:7], 4
	s_lshl_b64 s[18:19], s[18:19], 4
	;; [unrolled: 1-line block ×3, first 2 shown]
	s_add_nc_u64 s[38:39], s[6:7], s[18:19]
	s_lshl_b64 s[14:15], s[14:15], 4
	s_add_nc_u64 s[6:7], s[38:39], s[36:37]
	s_lshl_b64 s[10:11], s[10:11], 4
	s_add_nc_u64 s[6:7], s[16:17], s[6:7]
	s_add_nc_u64 s[16:17], s[16:17], s[38:39]
	v_add_co_u32 v12, s1, s6, v9
	s_delay_alu instid0(VALU_DEP_1)
	v_add_co_ci_u32_e64 v13, null, s7, 0, s1
	v_add_co_u32 v15, s1, s16, v9
	s_wait_alu 0xf1ff
	v_add_co_ci_u32_e64 v16, null, s17, 0, s1
	s_mul_u64 s[16:17], s[30:31], s[34:35]
	s_add_nc_u64 s[10:11], s[14:15], s[10:11]
	s_wait_alu 0xfffe
	s_lshl_b64 s[16:17], s[16:17], 4
	v_mul_lo_u32 v1, v0, s22
	s_wait_alu 0xfffe
	s_add_nc_u64 s[14:15], s[10:11], s[16:17]
	v_sub_nc_u32_e32 v2, s34, v0
	s_add_nc_u64 s[14:15], s[8:9], s[14:15]
	s_add_nc_u64 s[8:9], s[8:9], s[10:11]
	v_add_co_u32 v18, s1, s14, v9
	s_lshl_b32 s25, s22, 4
	v_add_co_ci_u32_e64 v19, null, s15, 0, s1
	v_add_co_u32 v20, s1, s8, v9
	v_cmp_gt_u32_e64 s0, s22, v0
	v_add_lshl_u32 v10, v1, v0, 4
	v_lshlrev_b32_e32 v11, 4, v2
	v_add_nc_u32_e32 v17, s25, v9
	s_wait_alu 0xf1ff
	v_add_co_ci_u32_e64 v21, null, s9, 0, s1
	s_lshl_b64 s[6:7], s[28:29], 4
	s_lshl_b64 s[8:9], s[30:31], 4
	;; [unrolled: 1-line block ×3, first 2 shown]
	s_wait_alu 0xfffe
	s_sub_nc_u64 s[18:19], 0, s[6:7]
	s_add_co_i32 s16, s25, 16
	s_lshl_b64 s[10:11], s[12:13], 4
	s_sub_nc_u64 s[12:13], 0, s[8:9]
	s_branch .LBB13_4
.LBB13_2:                               ;   in Loop: Header=BB13_4 Depth=1
	s_wait_alu 0xfffe
	s_or_b32 exec_lo, exec_lo, s17
.LBB13_3:                               ;   in Loop: Header=BB13_4 Depth=1
	s_add_co_i32 s2, s2, 0x10000
	s_delay_alu instid0(SALU_CYCLE_1)
	s_cmp_lt_u32 s2, s23
	s_cbranch_scc0 .LBB13_43
.LBB13_4:                               ; =>This Loop Header: Depth=1
                                        ;     Child Loop BB13_8 Depth 2
                                        ;     Child Loop BB13_12 Depth 2
	;; [unrolled: 1-line block ×3, first 2 shown]
                                        ;       Child Loop BB13_31 Depth 3
                                        ;     Child Loop BB13_38 Depth 2
                                        ;     Child Loop BB13_42 Depth 2
	s_and_not1_b32 vcc_lo, exec_lo, s24
	s_wait_alu 0xfffe
	s_cbranch_vccnz .LBB13_3
; %bb.5:                                ;   in Loop: Header=BB13_4 Depth=1
	s_and_saveexec_b32 s17, s0
	s_cbranch_execz .LBB13_13
; %bb.6:                                ;   in Loop: Header=BB13_4 Depth=1
	s_mul_u64 s[14:15], s[4:5], s[2:3]
	s_and_not1_b32 vcc_lo, exec_lo, s20
	s_mov_b32 s1, -1
	s_wait_alu 0xfffe
	s_cbranch_vccnz .LBB13_10
; %bb.7:                                ;   in Loop: Header=BB13_4 Depth=1
	v_add_co_u32 v1, vcc_lo, v12, s14
	s_wait_alu 0xfffd
	v_add_co_ci_u32_e64 v2, null, s15, v13, vcc_lo
	v_mov_b32_e32 v3, v11
	s_mov_b32 s26, 0
	s_mov_b32 s27, s22
.LBB13_8:                               ;   Parent Loop BB13_4 Depth=1
                                        ; =>  This Inner Loop Header: Depth=2
	global_load_b128 v[4:7], v[1:2], off
	s_wait_alu 0xfffe
	s_add_co_i32 s27, s27, -1
	v_add_co_u32 v1, vcc_lo, v1, s18
	s_wait_alu 0xfffe
	v_cmp_le_u32_e64 s1, s27, v0
	s_wait_alu 0xfffd
	v_add_co_ci_u32_e64 v2, null, s19, v2, vcc_lo
	s_or_b32 s26, s1, s26
	s_wait_loadcnt 0x0
	ds_store_2addr_b64 v3, v[4:5], v[6:7] offset1:1
	v_add_nc_u32_e32 v3, s25, v3
	s_wait_alu 0xfffe
	s_and_not1_b32 exec_lo, exec_lo, s26
	s_cbranch_execnz .LBB13_8
; %bb.9:                                ;   in Loop: Header=BB13_4 Depth=1
	s_or_b32 exec_lo, exec_lo, s26
	s_mov_b32 s1, 0
.LBB13_10:                              ;   in Loop: Header=BB13_4 Depth=1
	s_wait_alu 0xfffe
	s_and_b32 vcc_lo, exec_lo, s1
	s_wait_alu 0xfffe
	s_cbranch_vccz .LBB13_13
; %bb.11:                               ;   in Loop: Header=BB13_4 Depth=1
	v_add_co_u32 v1, vcc_lo, v15, s14
	s_wait_alu 0xfffd
	v_add_co_ci_u32_e64 v2, null, s15, v16, vcc_lo
	v_dual_mov_b32 v3, v9 :: v_dual_mov_b32 v4, v14
	s_mov_b32 s14, 0
.LBB13_12:                              ;   Parent Loop BB13_4 Depth=1
                                        ; =>  This Inner Loop Header: Depth=2
	global_load_b128 v[5:8], v[1:2], off
	v_add_nc_u32_e32 v4, -1, v4
	v_add_co_u32 v1, vcc_lo, v1, s6
	s_wait_alu 0xfffd
	v_add_co_ci_u32_e64 v2, null, s7, v2, vcc_lo
	s_delay_alu instid0(VALU_DEP_3)
	v_cmp_eq_u32_e64 s1, 0, v4
	s_wait_alu 0xfffe
	s_or_b32 s14, s1, s14
	s_wait_loadcnt 0x0
	ds_store_2addr_b64 v3, v[5:6], v[7:8] offset1:1
	v_add_nc_u32_e32 v3, s25, v3
	s_wait_alu 0xfffe
	s_and_not1_b32 exec_lo, exec_lo, s14
	s_cbranch_execnz .LBB13_12
.LBB13_13:                              ;   in Loop: Header=BB13_4 Depth=1
	s_wait_alu 0xfffe
	s_or_b32 exec_lo, exec_lo, s17
	s_wait_dscnt 0x0
	; wave barrier
	global_inv scope:SCOPE_SE
	s_and_saveexec_b32 s14, s0
	s_cbranch_execz .LBB13_24
; %bb.14:                               ;   in Loop: Header=BB13_4 Depth=1
	s_and_not1_b32 vcc_lo, exec_lo, s21
	s_wait_alu 0xfffe
	s_cbranch_vccnz .LBB13_22
; %bb.15:                               ;   in Loop: Header=BB13_4 Depth=1
	ds_load_b128 v[1:4], v10
	v_mov_b32_e32 v7, 0
	v_dual_mov_b32 v8, 0 :: v_dual_mov_b32 v5, 0
	v_mov_b32_e32 v6, 0x3ff00000
	s_wait_dscnt 0x0
	v_cmp_neq_f64_e32 vcc_lo, 0, v[1:2]
	v_cmp_neq_f64_e64 s1, 0, v[3:4]
	s_or_b32 s15, vcc_lo, s1
	s_wait_alu 0xfffe
	s_and_saveexec_b32 s1, s15
	s_cbranch_execz .LBB13_21
; %bb.16:                               ;   in Loop: Header=BB13_4 Depth=1
	v_cmp_ngt_f64_e64 s15, |v[1:2]|, |v[3:4]|
                                        ; implicit-def: $vgpr7_vgpr8
	s_and_saveexec_b32 s17, s15
	s_wait_alu 0xfffe
	s_xor_b32 s15, exec_lo, s17
	s_cbranch_execz .LBB13_18
; %bb.17:                               ;   in Loop: Header=BB13_4 Depth=1
	v_div_scale_f64 v[5:6], null, v[3:4], v[3:4], v[1:2]
	v_div_scale_f64 v[24:25], vcc_lo, v[1:2], v[3:4], v[1:2]
	s_delay_alu instid0(VALU_DEP_2) | instskip(NEXT) | instid1(TRANS32_DEP_1)
	v_rcp_f64_e32 v[7:8], v[5:6]
	v_fma_f64 v[22:23], -v[5:6], v[7:8], 1.0
	s_delay_alu instid0(VALU_DEP_1) | instskip(NEXT) | instid1(VALU_DEP_1)
	v_fma_f64 v[7:8], v[7:8], v[22:23], v[7:8]
	v_fma_f64 v[22:23], -v[5:6], v[7:8], 1.0
	s_delay_alu instid0(VALU_DEP_1) | instskip(NEXT) | instid1(VALU_DEP_1)
	v_fma_f64 v[7:8], v[7:8], v[22:23], v[7:8]
	v_mul_f64_e32 v[22:23], v[24:25], v[7:8]
	s_delay_alu instid0(VALU_DEP_1) | instskip(SKIP_1) | instid1(VALU_DEP_1)
	v_fma_f64 v[5:6], -v[5:6], v[22:23], v[24:25]
	s_wait_alu 0xfffd
	v_div_fmas_f64 v[5:6], v[5:6], v[7:8], v[22:23]
	s_delay_alu instid0(VALU_DEP_1) | instskip(NEXT) | instid1(VALU_DEP_1)
	v_div_fixup_f64 v[5:6], v[5:6], v[3:4], v[1:2]
	v_fma_f64 v[1:2], v[1:2], v[5:6], v[3:4]
	s_delay_alu instid0(VALU_DEP_1) | instskip(NEXT) | instid1(VALU_DEP_1)
	v_div_scale_f64 v[3:4], null, v[1:2], v[1:2], 1.0
	v_rcp_f64_e32 v[7:8], v[3:4]
	s_delay_alu instid0(TRANS32_DEP_1) | instskip(NEXT) | instid1(VALU_DEP_1)
	v_fma_f64 v[22:23], -v[3:4], v[7:8], 1.0
	v_fma_f64 v[7:8], v[7:8], v[22:23], v[7:8]
	s_delay_alu instid0(VALU_DEP_1) | instskip(NEXT) | instid1(VALU_DEP_1)
	v_fma_f64 v[22:23], -v[3:4], v[7:8], 1.0
	v_fma_f64 v[7:8], v[7:8], v[22:23], v[7:8]
	v_div_scale_f64 v[22:23], vcc_lo, 1.0, v[1:2], 1.0
	s_delay_alu instid0(VALU_DEP_1) | instskip(NEXT) | instid1(VALU_DEP_1)
	v_mul_f64_e32 v[24:25], v[22:23], v[7:8]
	v_fma_f64 v[3:4], -v[3:4], v[24:25], v[22:23]
	s_wait_alu 0xfffd
	s_delay_alu instid0(VALU_DEP_1) | instskip(NEXT) | instid1(VALU_DEP_1)
	v_div_fmas_f64 v[3:4], v[3:4], v[7:8], v[24:25]
	v_div_fixup_f64 v[7:8], v[3:4], v[1:2], 1.0
                                        ; implicit-def: $vgpr1_vgpr2
	s_delay_alu instid0(VALU_DEP_1)
	v_mul_f64_e32 v[5:6], v[5:6], v[7:8]
	v_xor_b32_e32 v8, 0x80000000, v8
.LBB13_18:                              ;   in Loop: Header=BB13_4 Depth=1
	s_wait_alu 0xfffe
	s_and_not1_saveexec_b32 s15, s15
	s_cbranch_execz .LBB13_20
; %bb.19:                               ;   in Loop: Header=BB13_4 Depth=1
	v_div_scale_f64 v[5:6], null, v[1:2], v[1:2], v[3:4]
	v_div_scale_f64 v[24:25], vcc_lo, v[3:4], v[1:2], v[3:4]
	s_delay_alu instid0(VALU_DEP_2) | instskip(NEXT) | instid1(TRANS32_DEP_1)
	v_rcp_f64_e32 v[7:8], v[5:6]
	v_fma_f64 v[22:23], -v[5:6], v[7:8], 1.0
	s_delay_alu instid0(VALU_DEP_1) | instskip(NEXT) | instid1(VALU_DEP_1)
	v_fma_f64 v[7:8], v[7:8], v[22:23], v[7:8]
	v_fma_f64 v[22:23], -v[5:6], v[7:8], 1.0
	s_delay_alu instid0(VALU_DEP_1) | instskip(NEXT) | instid1(VALU_DEP_1)
	v_fma_f64 v[7:8], v[7:8], v[22:23], v[7:8]
	v_mul_f64_e32 v[22:23], v[24:25], v[7:8]
	s_delay_alu instid0(VALU_DEP_1) | instskip(SKIP_1) | instid1(VALU_DEP_1)
	v_fma_f64 v[5:6], -v[5:6], v[22:23], v[24:25]
	s_wait_alu 0xfffd
	v_div_fmas_f64 v[5:6], v[5:6], v[7:8], v[22:23]
	s_delay_alu instid0(VALU_DEP_1) | instskip(NEXT) | instid1(VALU_DEP_1)
	v_div_fixup_f64 v[7:8], v[5:6], v[1:2], v[3:4]
	v_fma_f64 v[1:2], v[3:4], v[7:8], v[1:2]
	s_delay_alu instid0(VALU_DEP_1) | instskip(NEXT) | instid1(VALU_DEP_1)
	v_div_scale_f64 v[3:4], null, v[1:2], v[1:2], 1.0
	v_rcp_f64_e32 v[5:6], v[3:4]
	s_delay_alu instid0(TRANS32_DEP_1) | instskip(NEXT) | instid1(VALU_DEP_1)
	v_fma_f64 v[22:23], -v[3:4], v[5:6], 1.0
	v_fma_f64 v[5:6], v[5:6], v[22:23], v[5:6]
	s_delay_alu instid0(VALU_DEP_1) | instskip(NEXT) | instid1(VALU_DEP_1)
	v_fma_f64 v[22:23], -v[3:4], v[5:6], 1.0
	v_fma_f64 v[5:6], v[5:6], v[22:23], v[5:6]
	v_div_scale_f64 v[22:23], vcc_lo, 1.0, v[1:2], 1.0
	s_delay_alu instid0(VALU_DEP_1) | instskip(NEXT) | instid1(VALU_DEP_1)
	v_mul_f64_e32 v[24:25], v[22:23], v[5:6]
	v_fma_f64 v[3:4], -v[3:4], v[24:25], v[22:23]
	s_wait_alu 0xfffd
	s_delay_alu instid0(VALU_DEP_1) | instskip(NEXT) | instid1(VALU_DEP_1)
	v_div_fmas_f64 v[3:4], v[3:4], v[5:6], v[24:25]
	v_div_fixup_f64 v[5:6], v[3:4], v[1:2], 1.0
	s_delay_alu instid0(VALU_DEP_1)
	v_mul_f64_e64 v[7:8], v[7:8], -v[5:6]
.LBB13_20:                              ;   in Loop: Header=BB13_4 Depth=1
	s_wait_alu 0xfffe
	s_or_b32 exec_lo, exec_lo, s15
.LBB13_21:                              ;   in Loop: Header=BB13_4 Depth=1
	s_wait_alu 0xfffe
	s_or_b32 exec_lo, exec_lo, s1
	s_branch .LBB13_23
.LBB13_22:                              ;   in Loop: Header=BB13_4 Depth=1
	v_mov_b32_e32 v7, 0
	v_dual_mov_b32 v8, 0 :: v_dual_mov_b32 v5, 0
	v_mov_b32_e32 v6, 0x3ff00000
.LBB13_23:                              ;   in Loop: Header=BB13_4 Depth=1
	ds_store_b128 v10, v[5:8]
.LBB13_24:                              ;   in Loop: Header=BB13_4 Depth=1
	s_wait_alu 0xfffe
	s_or_b32 exec_lo, exec_lo, s14
	v_mov_b32_e32 v5, v17
	s_mov_b32 s1, 0
	s_mov_b32 s14, 16
	; wave barrier
	s_wait_loadcnt_dscnt 0x0
	global_inv scope:SCOPE_SE
	s_branch .LBB13_26
.LBB13_25:                              ;   in Loop: Header=BB13_26 Depth=2
	v_add_nc_u32_e32 v5, s25, v5
	s_add_co_i32 s14, s14, s16
	s_cmp_eq_u32 s1, s22
	s_wait_loadcnt 0x0
	; wave barrier
	global_inv scope:SCOPE_SE
	s_cbranch_scc1 .LBB13_35
.LBB13_26:                              ;   Parent Loop BB13_4 Depth=1
                                        ; =>  This Loop Header: Depth=2
                                        ;       Child Loop BB13_31 Depth 3
	v_mov_b32_e32 v1, 0
	v_dual_mov_b32 v2, 0 :: v_dual_mov_b32 v3, 0
	v_mov_b32_e32 v4, 0
	s_wait_alu 0xfffe
	s_mul_i32 s15, s1, s22
	s_mov_b32 s17, exec_lo
	v_cmpx_lt_u32_e64 s1, v0
	s_cbranch_execz .LBB13_28
; %bb.27:                               ;   in Loop: Header=BB13_26 Depth=2
	s_wait_alu 0xfffe
	s_lshl_b32 s26, s15, 4
	s_lshl_b32 s27, s1, 4
	s_wait_alu 0xfffe
	v_add_nc_u32_e32 v6, s26, v9
	s_add_co_i32 s27, s27, s26
	s_wait_alu 0xfffe
	v_mov_b32_e32 v1, s27
	ds_load_b128 v[1:4], v1
	ds_load_b128 v[22:25], v6
	s_wait_dscnt 0x0
	v_mul_f64_e32 v[6:7], v[3:4], v[24:25]
	v_mul_f64_e32 v[24:25], v[1:2], v[24:25]
	s_delay_alu instid0(VALU_DEP_2) | instskip(NEXT) | instid1(VALU_DEP_2)
	v_fma_f64 v[1:2], v[1:2], v[22:23], -v[6:7]
	v_fma_f64 v[3:4], v[3:4], v[22:23], v[24:25]
	s_delay_alu instid0(VALU_DEP_2) | instskip(NEXT) | instid1(VALU_DEP_2)
	v_add_f64_e32 v[1:2], 0, v[1:2]
	v_add_f64_e32 v[3:4], 0, v[3:4]
.LBB13_28:                              ;   in Loop: Header=BB13_26 Depth=2
	s_wait_alu 0xfffe
	s_or_b32 exec_lo, exec_lo, s17
	s_add_co_i32 s1, s1, 1
	s_wait_loadcnt 0x0
	s_wait_alu 0xfffe
	s_cmp_ge_i32 s1, s22
	; wave barrier
	global_inv scope:SCOPE_SE
	s_cbranch_scc1 .LBB13_25
; %bb.29:                               ;   in Loop: Header=BB13_26 Depth=2
	v_lshl_add_u32 v6, s15, 4, v9
	v_mov_b32_e32 v7, v5
	s_mov_b32 s15, s14
	s_mov_b32 s17, s1
	s_branch .LBB13_31
.LBB13_30:                              ;   in Loop: Header=BB13_31 Depth=3
	s_wait_alu 0xfffe
	s_or_b32 exec_lo, exec_lo, s26
	v_add_nc_u32_e32 v7, s25, v7
	s_add_co_i32 s17, s17, 1
	s_add_co_i32 s15, s15, 16
	s_wait_alu 0xfffe
	s_cmp_eq_u32 s22, s17
	s_wait_loadcnt 0x0
	; wave barrier
	global_inv scope:SCOPE_SE
	s_cbranch_scc1 .LBB13_25
.LBB13_31:                              ;   Parent Loop BB13_4 Depth=1
                                        ;     Parent Loop BB13_26 Depth=2
                                        ; =>    This Inner Loop Header: Depth=3
	s_mov_b32 s26, exec_lo
	s_wait_alu 0xfffe
	v_cmpx_eq_u32_e64 s17, v0
	s_cbranch_execz .LBB13_33
; %bb.32:                               ;   in Loop: Header=BB13_31 Depth=3
	ds_load_b128 v[22:25], v10
	v_add_f64_e64 v[26:27], -v[1:2], 0
	s_wait_dscnt 0x0
	v_mul_f64_e32 v[28:29], v[3:4], v[24:25]
	v_mul_f64_e32 v[30:31], v[3:4], v[22:23]
	s_delay_alu instid0(VALU_DEP_2) | instskip(NEXT) | instid1(VALU_DEP_2)
	v_fma_f64 v[22:23], v[26:27], v[22:23], v[28:29]
	v_fma_f64 v[24:25], v[26:27], v[24:25], -v[30:31]
	ds_store_b128 v6, v[22:25]
.LBB13_33:                              ;   in Loop: Header=BB13_31 Depth=3
	s_or_b32 exec_lo, exec_lo, s26
	s_delay_alu instid0(SALU_CYCLE_1)
	s_mov_b32 s26, exec_lo
	; wave barrier
	s_wait_loadcnt_dscnt 0x0
	global_inv scope:SCOPE_SE
	v_cmpx_lt_u32_e64 s17, v0
	s_cbranch_execz .LBB13_30
; %bb.34:                               ;   in Loop: Header=BB13_31 Depth=3
	v_mov_b32_e32 v8, s15
	ds_load_b128 v[22:25], v7
	ds_load_b128 v[26:29], v8
	s_wait_dscnt 0x0
	v_mul_f64_e32 v[30:31], v[28:29], v[24:25]
	v_mul_f64_e32 v[24:25], v[26:27], v[24:25]
	s_delay_alu instid0(VALU_DEP_2) | instskip(NEXT) | instid1(VALU_DEP_2)
	v_fma_f64 v[26:27], v[26:27], v[22:23], -v[30:31]
	v_fma_f64 v[22:23], v[28:29], v[22:23], v[24:25]
	s_delay_alu instid0(VALU_DEP_2) | instskip(NEXT) | instid1(VALU_DEP_2)
	v_add_f64_e32 v[1:2], v[1:2], v[26:27]
	v_add_f64_e32 v[3:4], v[3:4], v[22:23]
	s_branch .LBB13_30
.LBB13_35:                              ;   in Loop: Header=BB13_4 Depth=1
	s_and_saveexec_b32 s17, s0
	s_cbranch_execz .LBB13_2
; %bb.36:                               ;   in Loop: Header=BB13_4 Depth=1
	s_mul_u64 s[14:15], s[10:11], s[2:3]
	s_and_not1_b32 vcc_lo, exec_lo, s20
	s_mov_b32 s1, -1
	s_wait_alu 0xfffe
	s_cbranch_vccnz .LBB13_40
; %bb.37:                               ;   in Loop: Header=BB13_4 Depth=1
	v_add_co_u32 v1, vcc_lo, v18, s14
	s_wait_alu 0xfffd
	v_add_co_ci_u32_e64 v2, null, s15, v19, vcc_lo
	v_mov_b32_e32 v3, v11
	s_mov_b32 s26, 0
	s_mov_b32 s27, s22
.LBB13_38:                              ;   Parent Loop BB13_4 Depth=1
                                        ; =>  This Inner Loop Header: Depth=2
	ds_load_2addr_b64 v[4:7], v3 offset1:1
	s_wait_alu 0xfffe
	s_add_co_i32 s27, s27, -1
	v_add_nc_u32_e32 v3, s25, v3
	s_wait_alu 0xfffe
	v_cmp_le_u32_e32 vcc_lo, s27, v0
	s_or_b32 s26, vcc_lo, s26
	s_wait_dscnt 0x0
	global_store_b128 v[1:2], v[4:7], off
	v_add_co_u32 v1, s1, v1, s12
	s_wait_alu 0xf1ff
	v_add_co_ci_u32_e64 v2, null, s13, v2, s1
	s_wait_alu 0xfffe
	s_and_not1_b32 exec_lo, exec_lo, s26
	s_cbranch_execnz .LBB13_38
; %bb.39:                               ;   in Loop: Header=BB13_4 Depth=1
	s_or_b32 exec_lo, exec_lo, s26
	s_mov_b32 s1, 0
.LBB13_40:                              ;   in Loop: Header=BB13_4 Depth=1
	s_wait_alu 0xfffe
	s_and_b32 vcc_lo, exec_lo, s1
	s_wait_alu 0xfffe
	s_cbranch_vccz .LBB13_2
; %bb.41:                               ;   in Loop: Header=BB13_4 Depth=1
	v_add_co_u32 v1, vcc_lo, v20, s14
	s_wait_alu 0xfffd
	v_add_co_ci_u32_e64 v2, null, s15, v21, vcc_lo
	v_dual_mov_b32 v3, v9 :: v_dual_mov_b32 v4, v14
	s_mov_b32 s14, 0
.LBB13_42:                              ;   Parent Loop BB13_4 Depth=1
                                        ; =>  This Inner Loop Header: Depth=2
	ds_load_2addr_b64 v[5:8], v3 offset1:1
	v_add_nc_u32_e32 v4, -1, v4
	v_add_nc_u32_e32 v3, s25, v3
	s_delay_alu instid0(VALU_DEP_2)
	v_cmp_eq_u32_e32 vcc_lo, 0, v4
	s_wait_alu 0xfffe
	s_or_b32 s14, vcc_lo, s14
	s_wait_dscnt 0x0
	global_store_b128 v[1:2], v[5:8], off
	v_add_co_u32 v1, s1, v1, s8
	s_wait_alu 0xf1ff
	v_add_co_ci_u32_e64 v2, null, s9, v2, s1
	s_wait_alu 0xfffe
	s_and_not1_b32 exec_lo, exec_lo, s14
	s_cbranch_execnz .LBB13_42
	s_branch .LBB13_2
.LBB13_43:
	s_endpgm
	.section	.rodata,"a",@progbits
	.p2align	6, 0x0
	.amdhsa_kernel _ZL26rocblas_trtri_small_kernelILi16E19rocblas_complex_numIdEPKS1_PS1_Ev13rocblas_fill_17rocblas_diagonal_iT1_lillT2_lilli
		.amdhsa_group_segment_fixed_size 4096
		.amdhsa_private_segment_fixed_size 0
		.amdhsa_kernarg_size 100
		.amdhsa_user_sgpr_count 2
		.amdhsa_user_sgpr_dispatch_ptr 0
		.amdhsa_user_sgpr_queue_ptr 0
		.amdhsa_user_sgpr_kernarg_segment_ptr 1
		.amdhsa_user_sgpr_dispatch_id 0
		.amdhsa_user_sgpr_private_segment_size 0
		.amdhsa_wavefront_size32 1
		.amdhsa_uses_dynamic_stack 0
		.amdhsa_enable_private_segment 0
		.amdhsa_system_sgpr_workgroup_id_x 1
		.amdhsa_system_sgpr_workgroup_id_y 0
		.amdhsa_system_sgpr_workgroup_id_z 1
		.amdhsa_system_sgpr_workgroup_info 0
		.amdhsa_system_vgpr_workitem_id 0
		.amdhsa_next_free_vgpr 169
		.amdhsa_next_free_sgpr 40
		.amdhsa_reserve_vcc 1
		.amdhsa_float_round_mode_32 0
		.amdhsa_float_round_mode_16_64 0
		.amdhsa_float_denorm_mode_32 3
		.amdhsa_float_denorm_mode_16_64 3
		.amdhsa_fp16_overflow 0
		.amdhsa_workgroup_processor_mode 1
		.amdhsa_memory_ordered 1
		.amdhsa_forward_progress 1
		.amdhsa_inst_pref_size 17
		.amdhsa_round_robin_scheduling 0
		.amdhsa_exception_fp_ieee_invalid_op 0
		.amdhsa_exception_fp_denorm_src 0
		.amdhsa_exception_fp_ieee_div_zero 0
		.amdhsa_exception_fp_ieee_overflow 0
		.amdhsa_exception_fp_ieee_underflow 0
		.amdhsa_exception_fp_ieee_inexact 0
		.amdhsa_exception_int_div_zero 0
	.end_amdhsa_kernel
	.section	.text._ZL26rocblas_trtri_small_kernelILi16E19rocblas_complex_numIdEPKS1_PS1_Ev13rocblas_fill_17rocblas_diagonal_iT1_lillT2_lilli,"axG",@progbits,_ZL26rocblas_trtri_small_kernelILi16E19rocblas_complex_numIdEPKS1_PS1_Ev13rocblas_fill_17rocblas_diagonal_iT1_lillT2_lilli,comdat
.Lfunc_end13:
	.size	_ZL26rocblas_trtri_small_kernelILi16E19rocblas_complex_numIdEPKS1_PS1_Ev13rocblas_fill_17rocblas_diagonal_iT1_lillT2_lilli, .Lfunc_end13-_ZL26rocblas_trtri_small_kernelILi16E19rocblas_complex_numIdEPKS1_PS1_Ev13rocblas_fill_17rocblas_diagonal_iT1_lillT2_lilli
                                        ; -- End function
	.set _ZL26rocblas_trtri_small_kernelILi16E19rocblas_complex_numIdEPKS1_PS1_Ev13rocblas_fill_17rocblas_diagonal_iT1_lillT2_lilli.num_vgpr, 32
	.set _ZL26rocblas_trtri_small_kernelILi16E19rocblas_complex_numIdEPKS1_PS1_Ev13rocblas_fill_17rocblas_diagonal_iT1_lillT2_lilli.num_agpr, 0
	.set _ZL26rocblas_trtri_small_kernelILi16E19rocblas_complex_numIdEPKS1_PS1_Ev13rocblas_fill_17rocblas_diagonal_iT1_lillT2_lilli.numbered_sgpr, 40
	.set _ZL26rocblas_trtri_small_kernelILi16E19rocblas_complex_numIdEPKS1_PS1_Ev13rocblas_fill_17rocblas_diagonal_iT1_lillT2_lilli.num_named_barrier, 0
	.set _ZL26rocblas_trtri_small_kernelILi16E19rocblas_complex_numIdEPKS1_PS1_Ev13rocblas_fill_17rocblas_diagonal_iT1_lillT2_lilli.private_seg_size, 0
	.set _ZL26rocblas_trtri_small_kernelILi16E19rocblas_complex_numIdEPKS1_PS1_Ev13rocblas_fill_17rocblas_diagonal_iT1_lillT2_lilli.uses_vcc, 1
	.set _ZL26rocblas_trtri_small_kernelILi16E19rocblas_complex_numIdEPKS1_PS1_Ev13rocblas_fill_17rocblas_diagonal_iT1_lillT2_lilli.uses_flat_scratch, 0
	.set _ZL26rocblas_trtri_small_kernelILi16E19rocblas_complex_numIdEPKS1_PS1_Ev13rocblas_fill_17rocblas_diagonal_iT1_lillT2_lilli.has_dyn_sized_stack, 0
	.set _ZL26rocblas_trtri_small_kernelILi16E19rocblas_complex_numIdEPKS1_PS1_Ev13rocblas_fill_17rocblas_diagonal_iT1_lillT2_lilli.has_recursion, 0
	.set _ZL26rocblas_trtri_small_kernelILi16E19rocblas_complex_numIdEPKS1_PS1_Ev13rocblas_fill_17rocblas_diagonal_iT1_lillT2_lilli.has_indirect_call, 0
	.section	.AMDGPU.csdata,"",@progbits
; Kernel info:
; codeLenInByte = 2136
; TotalNumSgprs: 42
; NumVgprs: 32
; ScratchSize: 0
; MemoryBound: 0
; FloatMode: 240
; IeeeMode: 1
; LDSByteSize: 4096 bytes/workgroup (compile time only)
; SGPRBlocks: 0
; VGPRBlocks: 21
; NumSGPRsForWavesPerEU: 42
; NumVGPRsForWavesPerEU: 169
; Occupancy: 8
; WaveLimiterHint : 0
; COMPUTE_PGM_RSRC2:SCRATCH_EN: 0
; COMPUTE_PGM_RSRC2:USER_SGPR: 2
; COMPUTE_PGM_RSRC2:TRAP_HANDLER: 0
; COMPUTE_PGM_RSRC2:TGID_X_EN: 1
; COMPUTE_PGM_RSRC2:TGID_Y_EN: 0
; COMPUTE_PGM_RSRC2:TGID_Z_EN: 1
; COMPUTE_PGM_RSRC2:TIDIG_COMP_CNT: 0
	.section	.text._ZL29rocblas_trtri_diagonal_kernelILi16E19rocblas_complex_numIdEPKS1_PS1_Ev13rocblas_fill_17rocblas_diagonal_iT1_lillT2_lilli,"axG",@progbits,_ZL29rocblas_trtri_diagonal_kernelILi16E19rocblas_complex_numIdEPKS1_PS1_Ev13rocblas_fill_17rocblas_diagonal_iT1_lillT2_lilli,comdat
	.globl	_ZL29rocblas_trtri_diagonal_kernelILi16E19rocblas_complex_numIdEPKS1_PS1_Ev13rocblas_fill_17rocblas_diagonal_iT1_lillT2_lilli ; -- Begin function _ZL29rocblas_trtri_diagonal_kernelILi16E19rocblas_complex_numIdEPKS1_PS1_Ev13rocblas_fill_17rocblas_diagonal_iT1_lillT2_lilli
	.p2align	8
	.type	_ZL29rocblas_trtri_diagonal_kernelILi16E19rocblas_complex_numIdEPKS1_PS1_Ev13rocblas_fill_17rocblas_diagonal_iT1_lillT2_lilli,@function
_ZL29rocblas_trtri_diagonal_kernelILi16E19rocblas_complex_numIdEPKS1_PS1_Ev13rocblas_fill_17rocblas_diagonal_iT1_lillT2_lilli: ; @_ZL29rocblas_trtri_diagonal_kernelILi16E19rocblas_complex_numIdEPKS1_PS1_Ev13rocblas_fill_17rocblas_diagonal_iT1_lillT2_lilli
; %bb.0:
	s_load_b32 s33, s[0:1], 0x60
	s_lshr_b32 s24, ttmp7, 16
	s_wait_kmcnt 0x0
	s_cmp_ge_u32 s24, s33
	s_cbranch_scc1 .LBB14_90
; %bb.1:
	s_clause 0x5
	s_load_b96 s[4:6], s[0:1], 0x0
	s_load_b128 s[20:23], s[0:1], 0x10
	s_load_b32 s34, s[0:1], 0x20
	s_load_b32 s30, s[0:1], 0x48
	s_load_b256 s[8:15], s[0:1], 0x28
	s_load_b128 s[16:19], s[0:1], 0x50
	s_mov_b32 s25, 0
	v_cvt_f32_ubyte0_e32 v5, v0
	s_mov_b32 s1, s25
	s_mov_b32 s3, s25
	;; [unrolled: 1-line block ×5, first 2 shown]
	v_lshlrev_b32_e32 v7, 4, v0
	s_wait_kmcnt 0x0
	s_ashr_i32 s35, s34, 31
	s_ashr_i32 s2, s6, 31
	s_ashr_i32 s31, s30, 31
	s_lshr_b32 s2, s2, 27
	s_lshl_b64 s[36:37], s[14:15], 4
	s_add_co_i32 s2, s6, s2
	s_lshl_b64 s[14:15], s[34:35], 5
	s_ashr_i32 s7, s2, 5
	s_add_nc_u64 s[44:45], s[12:13], s[36:37]
	s_cvt_f32_u32 s2, s7
	s_add_nc_u64 s[14:15], s[14:15], 32
	s_delay_alu instid0(SALU_CYCLE_2) | instskip(NEXT) | instid1(TRANS32_DEP_1)
	v_rcp_iflag_f32_e32 v1, s2
	v_readfirstlane_b32 s2, v1
	s_mul_f32 s0, s2, 0x4f7ffffe
	s_sub_co_i32 s2, 0, s7
	s_delay_alu instid0(SALU_CYCLE_2) | instskip(SKIP_1) | instid1(SALU_CYCLE_2)
	s_cvt_u32_f32 s0, s0
	s_wait_alu 0xfffe
	s_mul_i32 s2, s2, s0
	s_wait_alu 0xfffe
	s_mul_hi_u32 s2, s0, s2
	s_wait_alu 0xfffe
	s_add_co_i32 s0, s0, s2
	s_delay_alu instid0(SALU_CYCLE_1) | instskip(NEXT) | instid1(SALU_CYCLE_1)
	s_mul_hi_u32 s0, ttmp9, s0
	s_mul_i32 s2, s0, s7
	s_add_co_i32 s26, s0, 1
	s_wait_alu 0xfffe
	s_sub_co_i32 s2, ttmp9, s2
	s_wait_alu 0xfffe
	s_sub_co_i32 s28, s2, s7
	s_cmp_ge_u32 s2, s7
	s_cselect_b32 s0, s26, s0
	s_cselect_b32 s2, s28, s2
	s_add_co_i32 s26, s0, 1
	s_wait_alu 0xfffe
	s_cmp_ge_u32 s2, s7
	s_cselect_b32 s2, s26, s0
	s_lshl_b64 s[38:39], s[30:31], 5
	s_wait_alu 0xfffe
	s_mul_i32 s0, s2, s7
	s_add_nc_u64 s[40:41], s[38:39], 32
	s_sub_co_i32 s0, ttmp9, s0
	s_mul_u64 s[18:19], s[18:19], s[2:3]
	s_mul_u64 s[48:49], s[10:11], s[2:3]
	;; [unrolled: 1-line block ×3, first 2 shown]
	s_lshl_b32 s7, s0, 4
	s_wait_alu 0xfffe
	s_lshl_b64 s[40:41], s[2:3], 4
	s_sub_co_i32 s2, s6, s7
	s_lshl_b64 s[38:39], s[18:19], 4
	s_wait_alu 0xfffe
	s_min_u32 s26, s2, 16
	s_cmp_lg_u32 s6, s7
	v_cvt_f32_ubyte0_e32 v6, s26
	s_mul_u64 s[18:19], s[14:15], s[0:1]
	s_add_nc_u64 s[0:1], s[44:45], s[40:41]
	s_cselect_b32 s44, -1, 0
	s_lshl_b32 s52, s26, 1
	v_rcp_iflag_f32_e32 v8, v6
	v_mov_b32_e32 v9, 0
	v_mov_b32_e32 v1, s26
	v_cmp_gt_u32_e64 s2, s52, v0
	v_cmp_gt_u32_e32 vcc_lo, s26, v0
	s_mul_u64 s[6:7], s[26:27], s[34:35]
	s_mul_u64 s[14:15], s[26:27], s[30:31]
	s_cmp_lg_u32 s4, 0x7a
	v_cndmask_b32_e64 v2, 0, 0x3000, s2
	v_cndmask_b32_e64 v10, s52, v1, s2
	v_mul_f32_e32 v8, v5, v8
	s_cselect_b32 s45, -1, 0
	s_cmp_lg_u32 s5, 0x84
	s_add_nc_u64 s[4:5], s[6:7], s[26:27]
	s_add_nc_u64 s[6:7], s[14:15], s[26:27]
	v_trunc_f32_e32 v8, v8
	v_cndmask_b32_e64 v12, v2, 0x2000, vcc_lo
	v_cndmask_b32_e64 v2, s5, 0, vcc_lo
	;; [unrolled: 1-line block ×4, first 2 shown]
	v_fma_f32 v5, -v8, v6, v5
	v_cndmask_b32_e64 v3, s6, 0, vcc_lo
	v_cndmask_b32_e64 v25, v10, 0, vcc_lo
	v_cvt_u32_f32_e32 v10, v8
	s_cselect_b32 s46, -1, 0
	v_cmp_ge_f32_e64 vcc_lo, |v5|, v6
	s_add_co_i32 s42, s26, -1
	s_lshl_b32 s28, s26, 4
	s_lshl_b64 s[50:51], s[48:49], 4
	s_lshl_b64 s[18:19], s[18:19], 4
	;; [unrolled: 1-line block ×4, first 2 shown]
	s_add_nc_u64 s[4:5], s[50:51], s[18:19]
	s_wait_alu 0xfffe
	s_add_nc_u64 s[6:7], s[28:29], s[6:7]
	s_wait_alu 0xfffd
	v_add_co_ci_u32_e64 v6, null, 0, v10, vcc_lo
	s_add_nc_u64 s[50:51], s[4:5], s[22:23]
	s_wait_alu 0xfffe
	s_mul_u64 s[4:5], s[6:7], s[34:35]
	v_sub_nc_u32_e32 v8, v0, v25
	s_wait_alu 0xfffe
	s_add_nc_u64 s[4:5], s[50:51], s[4:5]
	v_mul_lo_u16 v15, v6, s26
	s_wait_alu 0xfffe
	v_add_co_u32 v10, s4, s4, v7
	v_lshlrev_b32_e32 v41, 4, v25
	s_add_nc_u64 s[10:11], s[0:1], s[38:39]
	s_mul_i32 s0, s26, 3
	s_mul_i32 s1, s26, s26
	v_add_co_ci_u32_e64 v14, null, s5, 0, s4
	v_add_nc_u32_e32 v5, s26, v8
	v_cmp_gt_u32_e64 s0, s0, v0
	v_cmp_gt_u32_e64 s1, s1, v0
	v_cmp_le_u32_e64 s3, s52, v0
	v_sub_nc_u16 v0, v0, v15
	v_sub_co_u32 v21, vcc_lo, v10, v41
	s_wait_alu 0xfffd
	v_subrev_co_ci_u32_e64 v22, null, 0, v14, vcc_lo
	v_and_b32_e32 v14, 0xffff, v6
	v_cmp_gt_u16_e64 s6, 16, v6
	v_ashrrev_i32_e32 v6, 31, v5
	v_and_b32_e32 v15, 0xffff, v0
	s_lshl_b64 s[18:19], s[34:35], 4
	s_mul_u64 s[34:35], s[34:35], s[42:43]
	v_lshlrev_b64_e32 v[0:1], 4, v[1:2]
	s_lshl_b64 s[34:35], s[34:35], 4
	v_lshlrev_b64_e32 v[5:6], 4, v[5:6]
	v_add_co_u32 v21, vcc_lo, s20, v21
	s_add_nc_u64 s[34:35], s[50:51], s[34:35]
	s_wait_alu 0xfffd
	v_add_co_ci_u32_e64 v22, null, s21, v22, vcc_lo
	v_add_co_u32 v2, vcc_lo, s34, v0
	s_mul_i32 s49, s26, s42
	s_add_nc_u64 s[42:43], s[20:21], s[50:51]
	s_wait_alu 0xfffd
	v_add_co_ci_u32_e64 v26, null, s35, v1, vcc_lo
	v_add_co_u32 v23, vcc_lo, s42, v5
	s_wait_alu 0xfffd
	v_add_co_ci_u32_e64 v24, null, s43, v6, vcc_lo
	v_add_co_u32 v2, vcc_lo, v2, v7
	;; [unrolled: 3-line block ×3, first 2 shown]
	s_wait_alu 0xfffd
	v_add_co_ci_u32_e64 v1, null, s51, v1, vcc_lo
	v_sub_co_u32 v2, s7, v2, v41
	s_delay_alu instid0(VALU_DEP_3)
	v_add_co_u32 v0, vcc_lo, v0, v7
	s_wait_alu 0xf1ff
	v_subrev_co_ci_u32_e64 v5, null, 0, v5, s7
	s_wait_alu 0xfffd
	v_add_co_ci_u32_e64 v1, null, 0, v1, vcc_lo
	v_sub_co_u32 v0, vcc_lo, v0, v41
	v_add_co_u32 v2, s7, s20, v2
	v_lshlrev_b32_e32 v19, 4, v15
	s_wait_alu 0xf1ff
	v_add_co_ci_u32_e64 v5, null, s21, v5, s7
	v_or_b32_e32 v0, 8, v0
	v_add_nc_u32_e32 v28, s28, v7
	v_add_lshl_u32 v6, v25, s26, 4
	s_wait_alu 0xfffd
	v_subrev_co_ci_u32_e64 v1, null, 0, v1, vcc_lo
	v_add_co_u32 v25, vcc_lo, v2, 8
	s_wait_alu 0xfffd
	v_add_co_ci_u32_e64 v26, null, 0, v5, vcc_lo
	v_sub_nc_u32_e32 v2, v28, v41
	v_add_co_u32 v28, vcc_lo, s20, v0
	v_sub_nc_u32_e32 v0, s28, v19
	s_wait_alu 0xfffd
	v_add_co_ci_u32_e64 v29, null, s21, v1, vcc_lo
	s_add_nc_u64 s[20:21], s[26:27], -1
	s_add_nc_u64 s[34:35], s[38:39], s[40:41]
	v_mul_lo_u32 v0, s26, v0
	s_wait_alu 0xfffe
	s_mul_u64 s[20:21], s[20:21], s[30:31]
	v_mul_u32_u24_e32 v37, s26, v14
	s_wait_alu 0xfffe
	s_lshl_b64 s[20:21], s[20:21], 4
	v_add_nc_u32_e32 v30, v12, v2
	s_wait_alu 0xfffe
	s_add_nc_u64 s[20:21], s[34:35], s[20:21]
	v_lshl_add_u32 v11, s49, 4, v7
	s_wait_alu 0xfffe
	s_add_nc_u64 s[20:21], s[36:37], s[20:21]
	v_sub_nc_u32_e32 v5, v0, v19
	v_lshlrev_b64_e32 v[0:1], 4, v[3:4]
	v_lshlrev_b32_e32 v2, 4, v37
	v_sub_nc_u32_e32 v11, v11, v41
	s_add_co_i32 s47, s26, 1
	v_add_nc_u32_e32 v38, 0x1ff0, v5
	v_mul_i32_i24_e32 v16, s47, v8
	s_wait_alu 0xfffe
	v_add_co_u32 v3, vcc_lo, s20, v0
	s_wait_alu 0xfffd
	v_add_co_ci_u32_e64 v4, null, s21, v1, vcc_lo
	v_add3_u32 v37, v2, v19, 0x1000
	v_add_nc_u32_e32 v39, 0x1000, v2
	v_add_co_u32 v2, vcc_lo, v3, v7
	s_wait_alu 0xfffd
	v_add_co_ci_u32_e64 v3, null, 0, v4, vcc_lo
	s_add_nc_u64 s[20:21], s[36:37], s[34:35]
	v_sub_co_u32 v2, vcc_lo, v2, v41
	s_wait_alu 0xfffd
	v_subrev_co_ci_u32_e64 v3, null, 0, v3, vcc_lo
	s_wait_alu 0xfffe
	v_add_co_u32 v4, vcc_lo, s20, v0
	s_wait_alu 0xfffd
	v_add_co_ci_u32_e64 v5, null, s21, v1, vcc_lo
	v_lshlrev_b64_e32 v[0:1], 4, v[8:9]
	v_add_co_u32 v9, vcc_lo, s12, v2
	s_wait_alu 0xfffd
	v_add_co_ci_u32_e64 v41, null, s13, v3, vcc_lo
	v_lshlrev_b32_e32 v18, 8, v14
	s_delay_alu instid0(VALU_DEP_4)
	v_add_co_u32 v0, vcc_lo, v4, v0
	v_add_nc_u32_e32 v46, s26, v15
	v_sub_nc_u32_e32 v6, v6, v7
	s_wait_alu 0xfffd
	v_add_co_ci_u32_e64 v1, null, v5, v1, vcc_lo
	v_add_nc_u32_e32 v17, v12, v11
	v_mad_co_i64_i32 v[10:11], null, v14, s30, 0
	s_movk_i32 s7, 0x110
	v_add_co_u32 v43, vcc_lo, s12, v0
	v_lshl_add_u32 v13, v8, 4, v12
	v_cmp_gt_i32_e64 s4, s26, v8
	v_cmp_lt_i32_e64 s5, -1, v8
	v_lshl_add_u32 v16, v16, 4, v12
	v_add_nc_u32_e32 v20, 0x1000, v19
	v_add3_u32 v27, v6, v12, -16
	v_or_b32_e32 v31, 16, v12
	v_sub_nc_u32_e32 v32, 0x3ff0, v18
	v_add_nc_u32_e32 v33, -1, v14
	s_wait_alu 0xfffe
	v_mad_u32_u24 v34, v14, s7, 0x2000
	v_add_nc_u32_e32 v35, v18, v19
	v_add_nc_u32_e32 v36, -1, v15
	v_add_nc_u32_e32 v40, 0x3000, v19
	v_add_nc_u32_e32 v42, 1, v8
	s_wait_alu 0xfffd
	v_add_co_ci_u32_e64 v44, null, s13, v1, vcc_lo
	v_lshlrev_b32_e32 v45, 4, v15
	v_lshlrev_b32_e32 v46, 4, v46
	s_lshl_b64 s[12:13], s[30:31], 4
	s_sub_co_i32 s48, 0, s28
	s_lshl_b64 s[8:9], s[8:9], 4
	s_sub_nc_u64 s[22:23], 0, s[18:19]
	s_add_co_i32 s29, s28, 16
	s_lshl_b64 s[20:21], s[16:17], 4
	s_wait_alu 0xfffe
	s_sub_nc_u64 s[30:31], 0, s[12:13]
	s_branch .LBB14_4
.LBB14_2:                               ;   in Loop: Header=BB14_4 Depth=1
	s_wait_alu 0xfffe
	s_or_b32 exec_lo, exec_lo, s27
.LBB14_3:                               ;   in Loop: Header=BB14_4 Depth=1
	s_add_co_i32 s24, s24, 0x10000
	s_delay_alu instid0(SALU_CYCLE_1)
	s_cmp_lt_u32 s24, s33
	s_cbranch_scc0 .LBB14_90
.LBB14_4:                               ; =>This Loop Header: Depth=1
                                        ;     Child Loop BB14_9 Depth 2
                                        ;     Child Loop BB14_13 Depth 2
	;; [unrolled: 1-line block ×5, first 2 shown]
                                        ;       Child Loop BB14_46 Depth 3
                                        ;     Child Loop BB14_53 Depth 2
                                        ;     Child Loop BB14_60 Depth 2
	;; [unrolled: 1-line block ×6, first 2 shown]
	s_and_not1_b32 vcc_lo, exec_lo, s44
	s_wait_alu 0xfffe
	s_cbranch_vccnz .LBB14_3
; %bb.5:                                ;   in Loop: Header=BB14_4 Depth=1
	s_mul_u64 s[34:35], s[8:9], s[24:25]
	s_and_saveexec_b32 s7, s3
	s_wait_alu 0xfffe
	s_xor_b32 s7, exec_lo, s7
	s_cbranch_execz .LBB14_15
; %bb.6:                                ;   in Loop: Header=BB14_4 Depth=1
	s_and_saveexec_b32 s27, s0
	s_cbranch_execz .LBB14_14
; %bb.7:                                ;   in Loop: Header=BB14_4 Depth=1
	s_and_not1_b32 vcc_lo, exec_lo, s45
	s_mov_b32 s36, -1
	s_wait_alu 0xfffe
	s_cbranch_vccnz .LBB14_11
; %bb.8:                                ;   in Loop: Header=BB14_4 Depth=1
	v_add_co_u32 v0, vcc_lo, v21, s34
	s_wait_alu 0xfffd
	v_add_co_ci_u32_e64 v1, null, s35, v22, vcc_lo
	v_mov_b32_e32 v2, v17
	s_mov_b32 s36, s47
.LBB14_9:                               ;   Parent Loop BB14_4 Depth=1
                                        ; =>  This Inner Loop Header: Depth=2
	global_load_b128 v[3:6], v[0:1], off
	v_add_co_u32 v0, vcc_lo, v0, s22
	s_wait_alu 0xfffd
	v_add_co_ci_u32_e64 v1, null, s23, v1, vcc_lo
	s_wait_alu 0xfffe
	s_add_co_i32 s36, s36, -1
	s_wait_alu 0xfffe
	s_cmp_gt_u32 s36, 1
	s_wait_loadcnt 0x0
	ds_store_2addr_b64 v2, v[3:4], v[5:6] offset1:1
	v_add_nc_u32_e32 v2, s48, v2
	s_cbranch_scc1 .LBB14_9
; %bb.10:                               ;   in Loop: Header=BB14_4 Depth=1
	s_mov_b32 s36, 0
.LBB14_11:                              ;   in Loop: Header=BB14_4 Depth=1
	s_wait_alu 0xfffe
	s_and_b32 vcc_lo, exec_lo, s36
	s_wait_alu 0xfffe
	s_cbranch_vccz .LBB14_14
; %bb.12:                               ;   in Loop: Header=BB14_4 Depth=1
	v_add_co_u32 v0, vcc_lo, v23, s34
	s_wait_alu 0xfffd
	v_add_co_ci_u32_e64 v1, null, s35, v24, vcc_lo
	v_mov_b32_e32 v2, v13
	s_mov_b32 s36, s26
.LBB14_13:                              ;   Parent Loop BB14_4 Depth=1
                                        ; =>  This Inner Loop Header: Depth=2
	global_load_b128 v[3:6], v[0:1], off
	v_add_co_u32 v0, vcc_lo, v0, s18
	s_wait_alu 0xfffd
	v_add_co_ci_u32_e64 v1, null, s19, v1, vcc_lo
	s_wait_alu 0xfffe
	s_add_co_i32 s36, s36, -1
	s_wait_alu 0xfffe
	s_cmp_eq_u32 s36, 0
	s_wait_loadcnt 0x0
	ds_store_2addr_b64 v2, v[3:4], v[5:6] offset1:1
	v_add_nc_u32_e32 v2, s28, v2
	s_cbranch_scc0 .LBB14_13
.LBB14_14:                              ;   in Loop: Header=BB14_4 Depth=1
	s_wait_alu 0xfffe
	s_or_b32 exec_lo, exec_lo, s27
.LBB14_15:                              ;   in Loop: Header=BB14_4 Depth=1
	s_wait_alu 0xfffe
	s_and_not1_saveexec_b32 s7, s7
	s_cbranch_execz .LBB14_27
; %bb.16:                               ;   in Loop: Header=BB14_4 Depth=1
	s_and_b32 vcc_lo, exec_lo, s45
	s_mov_b32 s27, -1
	s_wait_alu 0xfffe
	s_cbranch_vccz .LBB14_22
; %bb.17:                               ;   in Loop: Header=BB14_4 Depth=1
	v_add_co_u32 v4, vcc_lo, v25, s34
	s_wait_alu 0xfffd
	v_add_co_ci_u32_e64 v5, null, s35, v26, vcc_lo
	v_mov_b32_e32 v6, v27
	s_mov_b32 s27, s26
	s_branch .LBB14_19
.LBB14_18:                              ;   in Loop: Header=BB14_19 Depth=2
	s_or_b32 exec_lo, exec_lo, s36
	v_add_co_u32 v4, vcc_lo, v4, s22
	s_wait_loadcnt 0x0
	ds_store_b128 v6, v[0:3]
	s_wait_alu 0xfffd
	v_add_co_ci_u32_e64 v5, null, s23, v5, vcc_lo
	v_add_nc_u32_e32 v6, s28, v6
	s_cmp_lt_i32 s27, 1
	s_cbranch_scc1 .LBB14_21
.LBB14_19:                              ;   Parent Loop BB14_4 Depth=1
                                        ; =>  This Inner Loop Header: Depth=2
	v_mov_b32_e32 v0, 0
	v_dual_mov_b32 v1, 0 :: v_dual_mov_b32 v2, 0
	v_mov_b32_e32 v3, 0
	s_wait_alu 0xfffe
	s_add_co_i32 s27, s27, -1
	s_mov_b32 s36, exec_lo
	s_wait_alu 0xfffe
	v_cmpx_ge_i32_e64 s27, v8
	s_cbranch_execz .LBB14_18
; %bb.20:                               ;   in Loop: Header=BB14_19 Depth=2
	global_load_b128 v[0:3], v[4:5], off offset:-8
	s_branch .LBB14_18
.LBB14_21:                              ;   in Loop: Header=BB14_4 Depth=1
	s_mov_b32 s27, 0
.LBB14_22:                              ;   in Loop: Header=BB14_4 Depth=1
	s_wait_alu 0xfffe
	s_and_b32 vcc_lo, exec_lo, s27
	s_wait_alu 0xfffe
	s_cbranch_vccz .LBB14_27
; %bb.23:                               ;   in Loop: Header=BB14_4 Depth=1
	v_add_co_u32 v4, vcc_lo, v28, s34
	s_wait_alu 0xfffd
	v_add_co_ci_u32_e64 v5, null, s35, v29, vcc_lo
	v_mov_b32_e32 v6, v13
	s_mov_b32 s27, 0
	s_branch .LBB14_25
.LBB14_24:                              ;   in Loop: Header=BB14_25 Depth=2
	s_or_b32 exec_lo, exec_lo, s34
	v_add_co_u32 v4, vcc_lo, v4, s18
	s_wait_loadcnt 0x0
	ds_store_b128 v6, v[0:3]
	s_wait_alu 0xfffd
	v_add_co_ci_u32_e64 v5, null, s19, v5, vcc_lo
	v_add_nc_u32_e32 v6, s28, v6
	s_add_co_i32 s27, s27, 1
	s_wait_alu 0xfffe
	s_cmp_eq_u32 s26, s27
	s_cbranch_scc1 .LBB14_27
.LBB14_25:                              ;   Parent Loop BB14_4 Depth=1
                                        ; =>  This Inner Loop Header: Depth=2
	v_mov_b32_e32 v0, 0
	v_dual_mov_b32 v1, 0 :: v_dual_mov_b32 v2, 0
	v_mov_b32_e32 v3, 0
	s_mov_b32 s34, exec_lo
	s_wait_alu 0xfffe
	v_cmpx_le_i32_e64 s27, v8
	s_cbranch_execz .LBB14_24
; %bb.26:                               ;   in Loop: Header=BB14_25 Depth=2
	global_load_b128 v[0:3], v[4:5], off offset:-8
	s_branch .LBB14_24
.LBB14_27:                              ;   in Loop: Header=BB14_4 Depth=1
	s_wait_alu 0xfffe
	s_or_b32 exec_lo, exec_lo, s7
	s_wait_dscnt 0x0
	s_barrier_signal -1
	s_barrier_wait -1
	global_inv scope:SCOPE_SE
	s_and_saveexec_b32 s27, s2
	s_cbranch_execz .LBB14_38
; %bb.28:                               ;   in Loop: Header=BB14_4 Depth=1
	s_and_not1_b32 vcc_lo, exec_lo, s46
	s_wait_alu 0xfffe
	s_cbranch_vccnz .LBB14_36
; %bb.29:                               ;   in Loop: Header=BB14_4 Depth=1
	ds_load_b128 v[0:3], v16
	v_mov_b32_e32 v6, 0
	v_dual_mov_b32 v7, 0 :: v_dual_mov_b32 v4, 0
	v_mov_b32_e32 v5, 0x3ff00000
	s_wait_dscnt 0x0
	v_cmp_neq_f64_e32 vcc_lo, 0, v[0:1]
	v_cmp_neq_f64_e64 s7, 0, v[2:3]
	s_or_b32 s34, vcc_lo, s7
	s_wait_alu 0xfffe
	s_and_saveexec_b32 s7, s34
	s_cbranch_execz .LBB14_35
; %bb.30:                               ;   in Loop: Header=BB14_4 Depth=1
	v_cmp_ngt_f64_e64 s34, |v[0:1]|, |v[2:3]|
                                        ; implicit-def: $vgpr6_vgpr7
	s_and_saveexec_b32 s35, s34
	s_wait_alu 0xfffe
	s_xor_b32 s34, exec_lo, s35
	s_cbranch_execz .LBB14_32
; %bb.31:                               ;   in Loop: Header=BB14_4 Depth=1
	v_div_scale_f64 v[4:5], null, v[2:3], v[2:3], v[0:1]
	v_div_scale_f64 v[49:50], vcc_lo, v[0:1], v[2:3], v[0:1]
	s_delay_alu instid0(VALU_DEP_2) | instskip(NEXT) | instid1(TRANS32_DEP_1)
	v_rcp_f64_e32 v[6:7], v[4:5]
	v_fma_f64 v[47:48], -v[4:5], v[6:7], 1.0
	s_delay_alu instid0(VALU_DEP_1) | instskip(NEXT) | instid1(VALU_DEP_1)
	v_fma_f64 v[6:7], v[6:7], v[47:48], v[6:7]
	v_fma_f64 v[47:48], -v[4:5], v[6:7], 1.0
	s_delay_alu instid0(VALU_DEP_1) | instskip(NEXT) | instid1(VALU_DEP_1)
	v_fma_f64 v[6:7], v[6:7], v[47:48], v[6:7]
	v_mul_f64_e32 v[47:48], v[49:50], v[6:7]
	s_delay_alu instid0(VALU_DEP_1) | instskip(SKIP_1) | instid1(VALU_DEP_1)
	v_fma_f64 v[4:5], -v[4:5], v[47:48], v[49:50]
	s_wait_alu 0xfffd
	v_div_fmas_f64 v[4:5], v[4:5], v[6:7], v[47:48]
	s_delay_alu instid0(VALU_DEP_1) | instskip(NEXT) | instid1(VALU_DEP_1)
	v_div_fixup_f64 v[4:5], v[4:5], v[2:3], v[0:1]
	v_fma_f64 v[0:1], v[0:1], v[4:5], v[2:3]
	s_delay_alu instid0(VALU_DEP_1) | instskip(NEXT) | instid1(VALU_DEP_1)
	v_div_scale_f64 v[2:3], null, v[0:1], v[0:1], 1.0
	v_rcp_f64_e32 v[6:7], v[2:3]
	s_delay_alu instid0(TRANS32_DEP_1) | instskip(NEXT) | instid1(VALU_DEP_1)
	v_fma_f64 v[47:48], -v[2:3], v[6:7], 1.0
	v_fma_f64 v[6:7], v[6:7], v[47:48], v[6:7]
	s_delay_alu instid0(VALU_DEP_1) | instskip(NEXT) | instid1(VALU_DEP_1)
	v_fma_f64 v[47:48], -v[2:3], v[6:7], 1.0
	v_fma_f64 v[6:7], v[6:7], v[47:48], v[6:7]
	v_div_scale_f64 v[47:48], vcc_lo, 1.0, v[0:1], 1.0
	s_delay_alu instid0(VALU_DEP_1) | instskip(NEXT) | instid1(VALU_DEP_1)
	v_mul_f64_e32 v[49:50], v[47:48], v[6:7]
	v_fma_f64 v[2:3], -v[2:3], v[49:50], v[47:48]
	s_wait_alu 0xfffd
	s_delay_alu instid0(VALU_DEP_1) | instskip(NEXT) | instid1(VALU_DEP_1)
	v_div_fmas_f64 v[2:3], v[2:3], v[6:7], v[49:50]
	v_div_fixup_f64 v[6:7], v[2:3], v[0:1], 1.0
                                        ; implicit-def: $vgpr0_vgpr1
	s_delay_alu instid0(VALU_DEP_1)
	v_mul_f64_e32 v[4:5], v[4:5], v[6:7]
	v_xor_b32_e32 v7, 0x80000000, v7
.LBB14_32:                              ;   in Loop: Header=BB14_4 Depth=1
	s_wait_alu 0xfffe
	s_and_not1_saveexec_b32 s34, s34
	s_cbranch_execz .LBB14_34
; %bb.33:                               ;   in Loop: Header=BB14_4 Depth=1
	v_div_scale_f64 v[4:5], null, v[0:1], v[0:1], v[2:3]
	v_div_scale_f64 v[49:50], vcc_lo, v[2:3], v[0:1], v[2:3]
	s_delay_alu instid0(VALU_DEP_2) | instskip(NEXT) | instid1(TRANS32_DEP_1)
	v_rcp_f64_e32 v[6:7], v[4:5]
	v_fma_f64 v[47:48], -v[4:5], v[6:7], 1.0
	s_delay_alu instid0(VALU_DEP_1) | instskip(NEXT) | instid1(VALU_DEP_1)
	v_fma_f64 v[6:7], v[6:7], v[47:48], v[6:7]
	v_fma_f64 v[47:48], -v[4:5], v[6:7], 1.0
	s_delay_alu instid0(VALU_DEP_1) | instskip(NEXT) | instid1(VALU_DEP_1)
	v_fma_f64 v[6:7], v[6:7], v[47:48], v[6:7]
	v_mul_f64_e32 v[47:48], v[49:50], v[6:7]
	s_delay_alu instid0(VALU_DEP_1) | instskip(SKIP_1) | instid1(VALU_DEP_1)
	v_fma_f64 v[4:5], -v[4:5], v[47:48], v[49:50]
	s_wait_alu 0xfffd
	v_div_fmas_f64 v[4:5], v[4:5], v[6:7], v[47:48]
	s_delay_alu instid0(VALU_DEP_1) | instskip(NEXT) | instid1(VALU_DEP_1)
	v_div_fixup_f64 v[6:7], v[4:5], v[0:1], v[2:3]
	v_fma_f64 v[0:1], v[2:3], v[6:7], v[0:1]
	s_delay_alu instid0(VALU_DEP_1) | instskip(NEXT) | instid1(VALU_DEP_1)
	v_div_scale_f64 v[2:3], null, v[0:1], v[0:1], 1.0
	v_rcp_f64_e32 v[4:5], v[2:3]
	s_delay_alu instid0(TRANS32_DEP_1) | instskip(NEXT) | instid1(VALU_DEP_1)
	v_fma_f64 v[47:48], -v[2:3], v[4:5], 1.0
	v_fma_f64 v[4:5], v[4:5], v[47:48], v[4:5]
	s_delay_alu instid0(VALU_DEP_1) | instskip(NEXT) | instid1(VALU_DEP_1)
	v_fma_f64 v[47:48], -v[2:3], v[4:5], 1.0
	v_fma_f64 v[4:5], v[4:5], v[47:48], v[4:5]
	v_div_scale_f64 v[47:48], vcc_lo, 1.0, v[0:1], 1.0
	s_delay_alu instid0(VALU_DEP_1) | instskip(NEXT) | instid1(VALU_DEP_1)
	v_mul_f64_e32 v[49:50], v[47:48], v[4:5]
	v_fma_f64 v[2:3], -v[2:3], v[49:50], v[47:48]
	s_wait_alu 0xfffd
	s_delay_alu instid0(VALU_DEP_1) | instskip(NEXT) | instid1(VALU_DEP_1)
	v_div_fmas_f64 v[2:3], v[2:3], v[4:5], v[49:50]
	v_div_fixup_f64 v[4:5], v[2:3], v[0:1], 1.0
	s_delay_alu instid0(VALU_DEP_1)
	v_mul_f64_e64 v[6:7], v[6:7], -v[4:5]
.LBB14_34:                              ;   in Loop: Header=BB14_4 Depth=1
	s_wait_alu 0xfffe
	s_or_b32 exec_lo, exec_lo, s34
.LBB14_35:                              ;   in Loop: Header=BB14_4 Depth=1
	s_wait_alu 0xfffe
	s_or_b32 exec_lo, exec_lo, s7
	s_branch .LBB14_37
.LBB14_36:                              ;   in Loop: Header=BB14_4 Depth=1
	v_mov_b32_e32 v6, 0
	v_dual_mov_b32 v7, 0 :: v_dual_mov_b32 v4, 0
	v_mov_b32_e32 v5, 0x3ff00000
.LBB14_37:                              ;   in Loop: Header=BB14_4 Depth=1
	ds_store_b128 v16, v[4:7]
.LBB14_38:                              ;   in Loop: Header=BB14_4 Depth=1
	s_wait_alu 0xfffe
	s_or_b32 exec_lo, exec_lo, s27
	s_wait_loadcnt_dscnt 0x0
	s_barrier_signal -1
	s_barrier_wait -1
	global_inv scope:SCOPE_SE
	s_and_saveexec_b32 s7, s2
	s_cbranch_execz .LBB14_50
; %bb.39:                               ;   in Loop: Header=BB14_4 Depth=1
	v_dual_mov_b32 v4, v31 :: v_dual_mov_b32 v5, v30
	s_mov_b32 s27, 0
	s_branch .LBB14_41
.LBB14_40:                              ;   in Loop: Header=BB14_41 Depth=2
	v_add_nc_u32_e32 v5, s28, v5
	v_add_nc_u32_e32 v4, s29, v4
	s_cmp_eq_u32 s27, s26
	s_cbranch_scc1 .LBB14_50
.LBB14_41:                              ;   Parent Loop BB14_4 Depth=1
                                        ; =>  This Loop Header: Depth=2
                                        ;       Child Loop BB14_46 Depth 3
	v_mov_b32_e32 v0, 0
	v_dual_mov_b32 v1, 0 :: v_dual_mov_b32 v2, 0
	v_mov_b32_e32 v3, 0
	s_wait_alu 0xfffe
	s_mul_i32 s34, s27, s26
	s_mov_b32 s35, exec_lo
	v_cmpx_lt_i32_e64 s27, v8
	s_cbranch_execz .LBB14_43
; %bb.42:                               ;   in Loop: Header=BB14_41 Depth=2
	s_wait_alu 0xfffe
	s_lshl_b32 s36, s34, 4
	s_lshl_b32 s37, s27, 4
	s_wait_alu 0xfffe
	v_add_nc_u32_e32 v6, s36, v13
	v_add3_u32 v0, s36, s37, v12
	ds_load_b128 v[0:3], v0
	ds_load_b128 v[47:50], v6
	s_wait_dscnt 0x0
	v_mul_f64_e32 v[6:7], v[2:3], v[49:50]
	v_mul_f64_e32 v[49:50], v[0:1], v[49:50]
	s_delay_alu instid0(VALU_DEP_2) | instskip(NEXT) | instid1(VALU_DEP_2)
	v_fma_f64 v[0:1], v[0:1], v[47:48], -v[6:7]
	v_fma_f64 v[2:3], v[2:3], v[47:48], v[49:50]
	s_delay_alu instid0(VALU_DEP_2) | instskip(NEXT) | instid1(VALU_DEP_2)
	v_add_f64_e32 v[0:1], 0, v[0:1]
	v_add_f64_e32 v[2:3], 0, v[2:3]
.LBB14_43:                              ;   in Loop: Header=BB14_41 Depth=2
	s_wait_alu 0xfffe
	s_or_b32 exec_lo, exec_lo, s35
	s_add_co_i32 s27, s27, 1
	s_wait_alu 0xfffe
	s_cmp_ge_u32 s27, s26
	s_cbranch_scc1 .LBB14_40
; %bb.44:                               ;   in Loop: Header=BB14_41 Depth=2
	v_lshl_add_u32 v6, s34, 4, v13
	v_mov_b32_e32 v7, v4
	v_mov_b32_e32 v47, v5
	s_mov_b32 s34, s27
	s_branch .LBB14_46
.LBB14_45:                              ;   in Loop: Header=BB14_46 Depth=3
	s_wait_alu 0xfffe
	s_or_b32 exec_lo, exec_lo, s35
	v_add_nc_u32_e32 v47, s28, v47
	v_add_nc_u32_e32 v7, 16, v7
	s_add_co_i32 s34, s34, 1
	s_wait_alu 0xfffe
	s_cmp_eq_u32 s26, s34
	s_cbranch_scc1 .LBB14_40
.LBB14_46:                              ;   Parent Loop BB14_4 Depth=1
                                        ;     Parent Loop BB14_41 Depth=2
                                        ; =>    This Inner Loop Header: Depth=3
	s_mov_b32 s35, exec_lo
	s_wait_alu 0xfffe
	v_cmpx_eq_u32_e64 s34, v8
	s_cbranch_execz .LBB14_48
; %bb.47:                               ;   in Loop: Header=BB14_46 Depth=3
	ds_load_b128 v[48:51], v16
	v_add_f64_e64 v[52:53], -v[0:1], 0
	s_wait_dscnt 0x0
	v_mul_f64_e32 v[54:55], v[2:3], v[50:51]
	v_mul_f64_e32 v[56:57], v[2:3], v[48:49]
	s_delay_alu instid0(VALU_DEP_2) | instskip(NEXT) | instid1(VALU_DEP_2)
	v_fma_f64 v[48:49], v[52:53], v[48:49], v[54:55]
	v_fma_f64 v[50:51], v[52:53], v[50:51], -v[56:57]
	ds_store_b128 v6, v[48:51]
.LBB14_48:                              ;   in Loop: Header=BB14_46 Depth=3
	s_or_b32 exec_lo, exec_lo, s35
	s_delay_alu instid0(SALU_CYCLE_1)
	s_mov_b32 s35, exec_lo
	v_cmpx_lt_i32_e64 s34, v8
	s_cbranch_execz .LBB14_45
; %bb.49:                               ;   in Loop: Header=BB14_46 Depth=3
	ds_load_b128 v[48:51], v7
	ds_load_b128 v[52:55], v47
	s_wait_dscnt 0x0
	v_mul_f64_e32 v[56:57], v[50:51], v[54:55]
	v_mul_f64_e32 v[54:55], v[48:49], v[54:55]
	s_delay_alu instid0(VALU_DEP_2) | instskip(NEXT) | instid1(VALU_DEP_2)
	v_fma_f64 v[48:49], v[48:49], v[52:53], -v[56:57]
	v_fma_f64 v[50:51], v[50:51], v[52:53], v[54:55]
	s_delay_alu instid0(VALU_DEP_2) | instskip(NEXT) | instid1(VALU_DEP_2)
	v_add_f64_e32 v[0:1], v[0:1], v[48:49]
	v_add_f64_e32 v[2:3], v[2:3], v[50:51]
	s_branch .LBB14_45
.LBB14_50:                              ;   in Loop: Header=BB14_4 Depth=1
	s_wait_alu 0xfffe
	s_or_b32 exec_lo, exec_lo, s7
	s_delay_alu instid0(SALU_CYCLE_1)
	s_and_b32 vcc_lo, exec_lo, s45
	s_wait_loadcnt_dscnt 0x0
	s_barrier_signal -1
	s_barrier_wait -1
	global_inv scope:SCOPE_SE
	s_wait_alu 0xfffe
	s_cbranch_vccz .LBB14_56
; %bb.51:                               ;   in Loop: Header=BB14_4 Depth=1
	s_mov_b32 s27, 0
	s_mov_b32 s7, 0
                                        ; implicit-def: $vgpr0_vgpr1
	s_and_saveexec_b32 s34, s1
	s_cbranch_execz .LBB14_55
; %bb.52:                               ;   in Loop: Header=BB14_4 Depth=1
	v_mov_b32_e32 v0, 0
	v_dual_mov_b32 v2, 0 :: v_dual_mov_b32 v5, v32
	v_dual_mov_b32 v1, 0 :: v_dual_mov_b32 v4, v19
	v_mov_b32_e32 v3, 0
	s_mov_b32 s35, -1
.LBB14_53:                              ;   Parent Loop BB14_4 Depth=1
                                        ; =>  This Inner Loop Header: Depth=2
	ds_load_b128 v[47:50], v5
	ds_load_b128 v[51:54], v4
	s_wait_alu 0xfffe
	s_add_co_i32 s35, s35, 1
	v_add_nc_u32_e32 v5, -16, v5
	s_wait_alu 0xfffe
	v_cmp_ge_u32_e32 vcc_lo, s35, v14
	v_add_nc_u32_e32 v4, 0x100, v4
	s_or_b32 s7, vcc_lo, s7
	s_wait_dscnt 0x0
	v_mul_f64_e32 v[6:7], v[49:50], v[53:54]
	v_mul_f64_e32 v[53:54], v[47:48], v[53:54]
	s_delay_alu instid0(VALU_DEP_2) | instskip(NEXT) | instid1(VALU_DEP_2)
	v_fma_f64 v[6:7], v[47:48], v[51:52], -v[6:7]
	v_fma_f64 v[47:48], v[49:50], v[51:52], v[53:54]
	s_delay_alu instid0(VALU_DEP_2) | instskip(NEXT) | instid1(VALU_DEP_2)
	v_add_f64_e32 v[2:3], v[2:3], v[6:7]
	v_add_f64_e32 v[0:1], v[0:1], v[47:48]
	s_wait_alu 0xfffe
	s_and_not1_b32 exec_lo, exec_lo, s7
	s_cbranch_execnz .LBB14_53
; %bb.54:                               ;   in Loop: Header=BB14_4 Depth=1
	s_or_b32 exec_lo, exec_lo, s7
	v_add_nc_u32_e32 v4, v20, v18
	s_mov_b32 s7, exec_lo
	ds_store_b64 v4, v[2:3]
.LBB14_55:                              ;   in Loop: Header=BB14_4 Depth=1
	s_wait_alu 0xfffe
	s_or_b32 exec_lo, exec_lo, s34
	s_delay_alu instid0(SALU_CYCLE_1)
	s_and_b32 vcc_lo, exec_lo, s27
	s_wait_alu 0xfffe
	s_cbranch_vccnz .LBB14_57
	s_branch .LBB14_64
.LBB14_56:                              ;   in Loop: Header=BB14_4 Depth=1
	s_mov_b32 s7, 0
                                        ; implicit-def: $vgpr0_vgpr1
	s_cbranch_execz .LBB14_64
.LBB14_57:                              ;   in Loop: Header=BB14_4 Depth=1
                                        ; implicit-def: $vgpr0_vgpr1
	s_and_saveexec_b32 s27, s1
	s_cbranch_execz .LBB14_63
; %bb.58:                               ;   in Loop: Header=BB14_4 Depth=1
	v_mov_b32_e32 v0, 0
	v_dual_mov_b32 v1, 0 :: v_dual_mov_b32 v2, 0
	v_mov_b32_e32 v3, 0
	s_and_saveexec_b32 s34, s6
	s_cbranch_execz .LBB14_62
; %bb.59:                               ;   in Loop: Header=BB14_4 Depth=1
	v_dual_mov_b32 v0, 0 :: v_dual_mov_b32 v5, v34
	v_dual_mov_b32 v2, 0 :: v_dual_mov_b32 v1, 0
	;; [unrolled: 1-line block ×3, first 2 shown]
	v_mov_b32_e32 v6, v33
	s_mov_b32 s35, 0
.LBB14_60:                              ;   Parent Loop BB14_4 Depth=1
                                        ; =>  This Inner Loop Header: Depth=2
	ds_load_b128 v[47:50], v5
	ds_load_b128 v[51:54], v4
	v_add_nc_u32_e32 v6, 1, v6
	v_add_nc_u32_e32 v5, 16, v5
	v_add_nc_u32_e32 v4, 0x100, v4
	s_delay_alu instid0(VALU_DEP_3)
	v_cmp_lt_u32_e32 vcc_lo, 14, v6
	s_wait_alu 0xfffe
	s_or_b32 s35, vcc_lo, s35
	s_wait_dscnt 0x0
	v_mul_f64_e32 v[55:56], v[49:50], v[53:54]
	v_mul_f64_e32 v[53:54], v[47:48], v[53:54]
	s_delay_alu instid0(VALU_DEP_2) | instskip(NEXT) | instid1(VALU_DEP_2)
	v_fma_f64 v[47:48], v[47:48], v[51:52], -v[55:56]
	v_fma_f64 v[49:50], v[49:50], v[51:52], v[53:54]
	s_delay_alu instid0(VALU_DEP_2) | instskip(NEXT) | instid1(VALU_DEP_2)
	v_add_f64_e32 v[2:3], v[2:3], v[47:48]
	v_add_f64_e32 v[0:1], v[0:1], v[49:50]
	s_wait_alu 0xfffe
	s_and_not1_b32 exec_lo, exec_lo, s35
	s_cbranch_execnz .LBB14_60
; %bb.61:                               ;   in Loop: Header=BB14_4 Depth=1
	s_or_b32 exec_lo, exec_lo, s35
.LBB14_62:                              ;   in Loop: Header=BB14_4 Depth=1
	s_wait_alu 0xfffe
	s_or_b32 exec_lo, exec_lo, s34
	v_add_nc_u32_e32 v4, v20, v18
	s_or_b32 s7, s7, exec_lo
	ds_store_b64 v4, v[2:3]
.LBB14_63:                              ;   in Loop: Header=BB14_4 Depth=1
	s_wait_alu 0xfffe
	s_or_b32 exec_lo, exec_lo, s27
.LBB14_64:                              ;   in Loop: Header=BB14_4 Depth=1
	s_wait_alu 0xfffe
	s_and_saveexec_b32 s27, s7
; %bb.65:                               ;   in Loop: Header=BB14_4 Depth=1
	v_add_nc_u32_e32 v2, v20, v18
	ds_store_b64 v2, v[0:1] offset:8
; %bb.66:                               ;   in Loop: Header=BB14_4 Depth=1
	s_wait_alu 0xfffe
	s_or_b32 exec_lo, exec_lo, s27
	s_mul_u64 s[34:35], s[16:17], s[24:25]
	s_and_b32 vcc_lo, exec_lo, s45
	s_wait_alu 0xfffe
	s_lshl_b64 s[34:35], s[34:35], 4
	s_wait_loadcnt_dscnt 0x0
	s_wait_alu 0xfffe
	s_add_nc_u64 s[34:35], s[10:11], s[34:35]
	s_barrier_signal -1
	s_barrier_wait -1
	global_inv scope:SCOPE_SE
	s_cbranch_vccz .LBB14_72
; %bb.67:                               ;   in Loop: Header=BB14_4 Depth=1
	s_mov_b32 s27, 0
	s_mov_b32 s7, 0
                                        ; implicit-def: $vgpr0_vgpr1
                                        ; implicit-def: $vgpr2_vgpr3
	s_and_saveexec_b32 s36, s1
	s_cbranch_execz .LBB14_71
; %bb.68:                               ;   in Loop: Header=BB14_4 Depth=1
	v_dual_mov_b32 v4, 0 :: v_dual_mov_b32 v3, v37
	v_dual_mov_b32 v0, 0 :: v_dual_mov_b32 v5, 0
	;; [unrolled: 1-line block ×3, first 2 shown]
	v_mov_b32_e32 v6, v36
.LBB14_69:                              ;   Parent Loop BB14_4 Depth=1
                                        ; =>  This Inner Loop Header: Depth=2
	ds_load_b128 v[47:50], v2
	ds_load_b128 v[51:54], v3
	v_add_nc_u32_e32 v6, 1, v6
	v_add_nc_u32_e32 v3, 16, v3
	;; [unrolled: 1-line block ×3, first 2 shown]
	s_delay_alu instid0(VALU_DEP_3)
	v_cmp_lt_u32_e32 vcc_lo, 14, v6
	s_wait_alu 0xfffe
	s_or_b32 s7, vcc_lo, s7
	s_wait_dscnt 0x0
	v_mul_f64_e32 v[55:56], v[47:48], v[51:52]
	v_mul_f64_e32 v[47:48], v[47:48], v[53:54]
	s_delay_alu instid0(VALU_DEP_2) | instskip(NEXT) | instid1(VALU_DEP_2)
	v_fma_f64 v[53:54], v[49:50], v[53:54], -v[55:56]
	v_fma_f64 v[47:48], v[51:52], -v[49:50], -v[47:48]
	s_delay_alu instid0(VALU_DEP_2) | instskip(NEXT) | instid1(VALU_DEP_2)
	v_add_f64_e32 v[4:5], v[4:5], v[53:54]
	v_add_f64_e32 v[0:1], v[0:1], v[47:48]
	s_wait_alu 0xfffe
	s_and_not1_b32 exec_lo, exec_lo, s7
	s_cbranch_execnz .LBB14_69
; %bb.70:                               ;   in Loop: Header=BB14_4 Depth=1
	s_or_b32 exec_lo, exec_lo, s7
	s_lshl_b64 s[38:39], s[14:15], 4
	v_lshlrev_b64_e32 v[2:3], 4, v[10:11]
	s_wait_alu 0xfffe
	s_add_nc_u64 s[38:39], s[34:35], s[38:39]
	s_mov_b32 s7, exec_lo
	s_wait_alu 0xfffe
	v_add_co_u32 v6, s37, s38, v45
	s_wait_alu 0xf1ff
	v_add_co_ci_u32_e64 v7, null, s39, 0, s37
	s_delay_alu instid0(VALU_DEP_2) | instskip(SKIP_1) | instid1(VALU_DEP_2)
	v_add_co_u32 v2, vcc_lo, v6, v2
	s_wait_alu 0xfffd
	v_add_co_ci_u32_e64 v3, null, v7, v3, vcc_lo
	global_store_b64 v[2:3], v[4:5], off
.LBB14_71:                              ;   in Loop: Header=BB14_4 Depth=1
	s_wait_alu 0xfffe
	s_or_b32 exec_lo, exec_lo, s36
	s_delay_alu instid0(SALU_CYCLE_1)
	s_and_b32 vcc_lo, exec_lo, s27
	s_wait_alu 0xfffe
	s_cbranch_vccnz .LBB14_73
	s_branch .LBB14_78
.LBB14_72:                              ;   in Loop: Header=BB14_4 Depth=1
	s_mov_b32 s7, 0
                                        ; implicit-def: $vgpr0_vgpr1
                                        ; implicit-def: $vgpr2_vgpr3
	s_cbranch_execz .LBB14_78
.LBB14_73:                              ;   in Loop: Header=BB14_4 Depth=1
                                        ; implicit-def: $vgpr0_vgpr1
                                        ; implicit-def: $vgpr2_vgpr3
	s_and_saveexec_b32 s27, s1
	s_cbranch_execz .LBB14_77
; %bb.74:                               ;   in Loop: Header=BB14_4 Depth=1
	v_mov_b32_e32 v4, 0
	v_dual_mov_b32 v0, 0 :: v_dual_mov_b32 v3, v39
	v_dual_mov_b32 v5, 0 :: v_dual_mov_b32 v2, v40
	v_mov_b32_e32 v1, 0
	s_mov_b32 s37, -1
	s_mov_b32 s36, 0
.LBB14_75:                              ;   Parent Loop BB14_4 Depth=1
                                        ; =>  This Inner Loop Header: Depth=2
	ds_load_b128 v[47:50], v2
	ds_load_b128 v[51:54], v3
	s_wait_alu 0xfffe
	s_add_co_i32 s37, s37, 1
	v_add_nc_u32_e32 v3, 16, v3
	s_wait_alu 0xfffe
	v_cmp_ge_u32_e32 vcc_lo, s37, v15
	v_add_nc_u32_e32 v2, s28, v2
	s_or_b32 s36, vcc_lo, s36
	s_wait_dscnt 0x0
	v_mul_f64_e32 v[6:7], v[47:48], v[51:52]
	v_mul_f64_e32 v[47:48], v[47:48], v[53:54]
	s_delay_alu instid0(VALU_DEP_2) | instskip(NEXT) | instid1(VALU_DEP_2)
	v_fma_f64 v[6:7], v[49:50], v[53:54], -v[6:7]
	v_fma_f64 v[47:48], v[51:52], -v[49:50], -v[47:48]
	s_delay_alu instid0(VALU_DEP_2) | instskip(NEXT) | instid1(VALU_DEP_2)
	v_add_f64_e32 v[4:5], v[4:5], v[6:7]
	v_add_f64_e32 v[0:1], v[0:1], v[47:48]
	s_wait_alu 0xfffe
	s_and_not1_b32 exec_lo, exec_lo, s36
	s_cbranch_execnz .LBB14_75
; %bb.76:                               ;   in Loop: Header=BB14_4 Depth=1
	s_or_b32 exec_lo, exec_lo, s36
	v_lshlrev_b64_e32 v[2:3], 4, v[10:11]
	s_or_b32 s7, s7, exec_lo
	s_delay_alu instid0(VALU_DEP_1) | instskip(SKIP_1) | instid1(VALU_DEP_2)
	v_add_co_u32 v2, vcc_lo, s34, v2
	s_wait_alu 0xfffd
	v_add_co_ci_u32_e64 v3, null, s35, v3, vcc_lo
	s_delay_alu instid0(VALU_DEP_2) | instskip(SKIP_1) | instid1(VALU_DEP_2)
	v_add_co_u32 v2, vcc_lo, v2, v46
	s_wait_alu 0xfffd
	v_add_co_ci_u32_e64 v3, null, 0, v3, vcc_lo
	global_store_b64 v[2:3], v[4:5], off
.LBB14_77:                              ;   in Loop: Header=BB14_4 Depth=1
	s_wait_alu 0xfffe
	s_or_b32 exec_lo, exec_lo, s27
.LBB14_78:                              ;   in Loop: Header=BB14_4 Depth=1
	s_wait_alu 0xfffe
	s_and_saveexec_b32 s27, s7
	s_cbranch_execz .LBB14_80
; %bb.79:                               ;   in Loop: Header=BB14_4 Depth=1
	global_store_b64 v[2:3], v[0:1], off offset:8
.LBB14_80:                              ;   in Loop: Header=BB14_4 Depth=1
	s_wait_alu 0xfffe
	s_or_b32 exec_lo, exec_lo, s27
	s_and_saveexec_b32 s27, s2
	s_cbranch_execz .LBB14_2
; %bb.81:                               ;   in Loop: Header=BB14_4 Depth=1
	s_mul_u64 s[34:35], s[20:21], s[24:25]
	s_and_b32 vcc_lo, exec_lo, s45
	s_mov_b32 s7, -1
	s_wait_alu 0xfffe
	s_cbranch_vccz .LBB14_86
; %bb.82:                               ;   in Loop: Header=BB14_4 Depth=1
	s_and_saveexec_b32 s36, s4
	s_cbranch_execz .LBB14_85
; %bb.83:                               ;   in Loop: Header=BB14_4 Depth=1
	v_add_co_u32 v0, vcc_lo, v9, s34
	s_wait_alu 0xfffd
	v_add_co_ci_u32_e64 v1, null, s35, v41, vcc_lo
	v_mov_b32_e32 v2, v27
	s_mov_b32 s37, 0
	s_mov_b32 s38, s26
.LBB14_84:                              ;   Parent Loop BB14_4 Depth=1
                                        ; =>  This Inner Loop Header: Depth=2
	ds_load_2addr_b64 v[3:6], v2 offset1:1
	s_wait_alu 0xfffe
	s_add_co_i32 s38, s38, -1
	v_add_nc_u32_e32 v2, s28, v2
	s_wait_alu 0xfffe
	v_cmp_le_i32_e32 vcc_lo, s38, v8
	s_or_b32 s37, vcc_lo, s37
	s_wait_dscnt 0x0
	global_store_b128 v[0:1], v[3:6], off
	v_add_co_u32 v0, s7, v0, s30
	s_wait_alu 0xf1ff
	v_add_co_ci_u32_e64 v1, null, s31, v1, s7
	s_wait_alu 0xfffe
	s_and_not1_b32 exec_lo, exec_lo, s37
	s_cbranch_execnz .LBB14_84
.LBB14_85:                              ;   in Loop: Header=BB14_4 Depth=1
	s_wait_alu 0xfffe
	s_or_b32 exec_lo, exec_lo, s36
	s_mov_b32 s7, 0
.LBB14_86:                              ;   in Loop: Header=BB14_4 Depth=1
	s_wait_alu 0xfffe
	s_and_not1_b32 vcc_lo, exec_lo, s7
	s_wait_alu 0xfffe
	s_cbranch_vccnz .LBB14_2
; %bb.87:                               ;   in Loop: Header=BB14_4 Depth=1
	s_and_b32 exec_lo, exec_lo, s5
	s_cbranch_execz .LBB14_2
; %bb.88:                               ;   in Loop: Header=BB14_4 Depth=1
	v_add_co_u32 v0, vcc_lo, v43, s34
	s_wait_alu 0xfffd
	v_add_co_ci_u32_e64 v1, null, s35, v44, vcc_lo
	v_dual_mov_b32 v2, v13 :: v_dual_mov_b32 v3, v42
	s_mov_b32 s34, 0
.LBB14_89:                              ;   Parent Loop BB14_4 Depth=1
                                        ; =>  This Inner Loop Header: Depth=2
	ds_load_2addr_b64 v[4:7], v2 offset1:1
	v_add_nc_u32_e32 v3, -1, v3
	v_add_nc_u32_e32 v2, s28, v2
	s_delay_alu instid0(VALU_DEP_2)
	v_cmp_eq_u32_e32 vcc_lo, 0, v3
	s_wait_alu 0xfffe
	s_or_b32 s34, vcc_lo, s34
	s_wait_dscnt 0x0
	global_store_b128 v[0:1], v[4:7], off
	v_add_co_u32 v0, s7, v0, s12
	s_wait_alu 0xf1ff
	v_add_co_ci_u32_e64 v1, null, s13, v1, s7
	s_wait_alu 0xfffe
	s_and_not1_b32 exec_lo, exec_lo, s34
	s_cbranch_execnz .LBB14_89
	s_branch .LBB14_2
.LBB14_90:
	s_endpgm
	.section	.rodata,"a",@progbits
	.p2align	6, 0x0
	.amdhsa_kernel _ZL29rocblas_trtri_diagonal_kernelILi16E19rocblas_complex_numIdEPKS1_PS1_Ev13rocblas_fill_17rocblas_diagonal_iT1_lillT2_lilli
		.amdhsa_group_segment_fixed_size 16384
		.amdhsa_private_segment_fixed_size 0
		.amdhsa_kernarg_size 100
		.amdhsa_user_sgpr_count 2
		.amdhsa_user_sgpr_dispatch_ptr 0
		.amdhsa_user_sgpr_queue_ptr 0
		.amdhsa_user_sgpr_kernarg_segment_ptr 1
		.amdhsa_user_sgpr_dispatch_id 0
		.amdhsa_user_sgpr_private_segment_size 0
		.amdhsa_wavefront_size32 1
		.amdhsa_uses_dynamic_stack 0
		.amdhsa_enable_private_segment 0
		.amdhsa_system_sgpr_workgroup_id_x 1
		.amdhsa_system_sgpr_workgroup_id_y 0
		.amdhsa_system_sgpr_workgroup_id_z 1
		.amdhsa_system_sgpr_workgroup_info 0
		.amdhsa_system_vgpr_workitem_id 0
		.amdhsa_next_free_vgpr 58
		.amdhsa_next_free_sgpr 53
		.amdhsa_reserve_vcc 1
		.amdhsa_float_round_mode_32 0
		.amdhsa_float_round_mode_16_64 0
		.amdhsa_float_denorm_mode_32 3
		.amdhsa_float_denorm_mode_16_64 3
		.amdhsa_fp16_overflow 0
		.amdhsa_workgroup_processor_mode 1
		.amdhsa_memory_ordered 1
		.amdhsa_forward_progress 1
		.amdhsa_inst_pref_size 36
		.amdhsa_round_robin_scheduling 0
		.amdhsa_exception_fp_ieee_invalid_op 0
		.amdhsa_exception_fp_denorm_src 0
		.amdhsa_exception_fp_ieee_div_zero 0
		.amdhsa_exception_fp_ieee_overflow 0
		.amdhsa_exception_fp_ieee_underflow 0
		.amdhsa_exception_fp_ieee_inexact 0
		.amdhsa_exception_int_div_zero 0
	.end_amdhsa_kernel
	.section	.text._ZL29rocblas_trtri_diagonal_kernelILi16E19rocblas_complex_numIdEPKS1_PS1_Ev13rocblas_fill_17rocblas_diagonal_iT1_lillT2_lilli,"axG",@progbits,_ZL29rocblas_trtri_diagonal_kernelILi16E19rocblas_complex_numIdEPKS1_PS1_Ev13rocblas_fill_17rocblas_diagonal_iT1_lillT2_lilli,comdat
.Lfunc_end14:
	.size	_ZL29rocblas_trtri_diagonal_kernelILi16E19rocblas_complex_numIdEPKS1_PS1_Ev13rocblas_fill_17rocblas_diagonal_iT1_lillT2_lilli, .Lfunc_end14-_ZL29rocblas_trtri_diagonal_kernelILi16E19rocblas_complex_numIdEPKS1_PS1_Ev13rocblas_fill_17rocblas_diagonal_iT1_lillT2_lilli
                                        ; -- End function
	.set _ZL29rocblas_trtri_diagonal_kernelILi16E19rocblas_complex_numIdEPKS1_PS1_Ev13rocblas_fill_17rocblas_diagonal_iT1_lillT2_lilli.num_vgpr, 58
	.set _ZL29rocblas_trtri_diagonal_kernelILi16E19rocblas_complex_numIdEPKS1_PS1_Ev13rocblas_fill_17rocblas_diagonal_iT1_lillT2_lilli.num_agpr, 0
	.set _ZL29rocblas_trtri_diagonal_kernelILi16E19rocblas_complex_numIdEPKS1_PS1_Ev13rocblas_fill_17rocblas_diagonal_iT1_lillT2_lilli.numbered_sgpr, 53
	.set _ZL29rocblas_trtri_diagonal_kernelILi16E19rocblas_complex_numIdEPKS1_PS1_Ev13rocblas_fill_17rocblas_diagonal_iT1_lillT2_lilli.num_named_barrier, 0
	.set _ZL29rocblas_trtri_diagonal_kernelILi16E19rocblas_complex_numIdEPKS1_PS1_Ev13rocblas_fill_17rocblas_diagonal_iT1_lillT2_lilli.private_seg_size, 0
	.set _ZL29rocblas_trtri_diagonal_kernelILi16E19rocblas_complex_numIdEPKS1_PS1_Ev13rocblas_fill_17rocblas_diagonal_iT1_lillT2_lilli.uses_vcc, 1
	.set _ZL29rocblas_trtri_diagonal_kernelILi16E19rocblas_complex_numIdEPKS1_PS1_Ev13rocblas_fill_17rocblas_diagonal_iT1_lillT2_lilli.uses_flat_scratch, 0
	.set _ZL29rocblas_trtri_diagonal_kernelILi16E19rocblas_complex_numIdEPKS1_PS1_Ev13rocblas_fill_17rocblas_diagonal_iT1_lillT2_lilli.has_dyn_sized_stack, 0
	.set _ZL29rocblas_trtri_diagonal_kernelILi16E19rocblas_complex_numIdEPKS1_PS1_Ev13rocblas_fill_17rocblas_diagonal_iT1_lillT2_lilli.has_recursion, 0
	.set _ZL29rocblas_trtri_diagonal_kernelILi16E19rocblas_complex_numIdEPKS1_PS1_Ev13rocblas_fill_17rocblas_diagonal_iT1_lillT2_lilli.has_indirect_call, 0
	.section	.AMDGPU.csdata,"",@progbits
; Kernel info:
; codeLenInByte = 4540
; TotalNumSgprs: 55
; NumVgprs: 58
; ScratchSize: 0
; MemoryBound: 1
; FloatMode: 240
; IeeeMode: 1
; LDSByteSize: 16384 bytes/workgroup (compile time only)
; SGPRBlocks: 0
; VGPRBlocks: 7
; NumSGPRsForWavesPerEU: 55
; NumVGPRsForWavesPerEU: 58
; Occupancy: 16
; WaveLimiterHint : 0
; COMPUTE_PGM_RSRC2:SCRATCH_EN: 0
; COMPUTE_PGM_RSRC2:USER_SGPR: 2
; COMPUTE_PGM_RSRC2:TRAP_HANDLER: 0
; COMPUTE_PGM_RSRC2:TGID_X_EN: 1
; COMPUTE_PGM_RSRC2:TGID_Y_EN: 0
; COMPUTE_PGM_RSRC2:TGID_Z_EN: 1
; COMPUTE_PGM_RSRC2:TIDIG_COMP_CNT: 0
	.section	.text._ZL30rocblas_trtri_remainder_kernelILi16E19rocblas_complex_numIdEPKS1_PS1_Ev13rocblas_fill_17rocblas_diagonal_iT1_lillT2_lilli,"axG",@progbits,_ZL30rocblas_trtri_remainder_kernelILi16E19rocblas_complex_numIdEPKS1_PS1_Ev13rocblas_fill_17rocblas_diagonal_iT1_lillT2_lilli,comdat
	.globl	_ZL30rocblas_trtri_remainder_kernelILi16E19rocblas_complex_numIdEPKS1_PS1_Ev13rocblas_fill_17rocblas_diagonal_iT1_lillT2_lilli ; -- Begin function _ZL30rocblas_trtri_remainder_kernelILi16E19rocblas_complex_numIdEPKS1_PS1_Ev13rocblas_fill_17rocblas_diagonal_iT1_lillT2_lilli
	.p2align	8
	.type	_ZL30rocblas_trtri_remainder_kernelILi16E19rocblas_complex_numIdEPKS1_PS1_Ev13rocblas_fill_17rocblas_diagonal_iT1_lillT2_lilli,@function
_ZL30rocblas_trtri_remainder_kernelILi16E19rocblas_complex_numIdEPKS1_PS1_Ev13rocblas_fill_17rocblas_diagonal_iT1_lillT2_lilli: ; @_ZL30rocblas_trtri_remainder_kernelILi16E19rocblas_complex_numIdEPKS1_PS1_Ev13rocblas_fill_17rocblas_diagonal_iT1_lillT2_lilli
; %bb.0:
	s_load_b32 s23, s[0:1], 0x60
	s_lshr_b32 s2, ttmp7, 16
	s_wait_kmcnt 0x0
	s_cmp_ge_u32 s2, s23
	s_cbranch_scc1 .LBB15_43
; %bb.1:
	s_clause 0x5
	s_load_b32 s28, s[0:1], 0x20
	s_load_b32 s30, s[0:1], 0x48
	s_load_b96 s[20:22], s[0:1], 0x0
	s_load_b256 s[4:11], s[0:1], 0x28
	s_load_b128 s[16:19], s[0:1], 0x10
	s_load_b128 s[12:15], s[0:1], 0x50
	s_mov_b32 s3, 0
	s_mov_b32 s26, ttmp9
	s_mov_b32 s27, s3
	s_mov_b32 s35, s3
	v_lshlrev_b32_e32 v9, 4, v0
	v_add_nc_u32_e32 v14, 1, v0
	s_wait_kmcnt 0x0
	s_ashr_i32 s29, s28, 31
	s_ashr_i32 s31, s30, 31
	s_cmp_gt_i32 s22, 0
	s_mul_u64 s[6:7], s[6:7], s[26:27]
	s_cselect_b32 s24, -1, 0
	s_cmp_lg_u32 s20, 0x7a
	s_mul_u64 s[14:15], s[14:15], s[26:27]
	s_cselect_b32 s20, -1, 0
	s_add_co_i32 s34, s22, -1
	s_cmp_lg_u32 s21, 0x84
	s_mul_u64 s[36:37], s[28:29], s[34:35]
	s_cselect_b32 s21, -1, 0
	s_lshl_b64 s[6:7], s[6:7], 4
	s_lshl_b64 s[18:19], s[18:19], 4
	;; [unrolled: 1-line block ×3, first 2 shown]
	s_add_nc_u64 s[38:39], s[6:7], s[18:19]
	s_lshl_b64 s[14:15], s[14:15], 4
	s_add_nc_u64 s[6:7], s[38:39], s[36:37]
	s_lshl_b64 s[10:11], s[10:11], 4
	s_add_nc_u64 s[6:7], s[16:17], s[6:7]
	s_add_nc_u64 s[16:17], s[16:17], s[38:39]
	v_add_co_u32 v12, s1, s6, v9
	s_delay_alu instid0(VALU_DEP_1)
	v_add_co_ci_u32_e64 v13, null, s7, 0, s1
	v_add_co_u32 v15, s1, s16, v9
	s_wait_alu 0xf1ff
	v_add_co_ci_u32_e64 v16, null, s17, 0, s1
	s_mul_u64 s[16:17], s[30:31], s[34:35]
	s_add_nc_u64 s[10:11], s[14:15], s[10:11]
	s_wait_alu 0xfffe
	s_lshl_b64 s[16:17], s[16:17], 4
	v_mul_lo_u32 v1, v0, s22
	s_wait_alu 0xfffe
	s_add_nc_u64 s[14:15], s[10:11], s[16:17]
	v_sub_nc_u32_e32 v2, s34, v0
	s_add_nc_u64 s[14:15], s[8:9], s[14:15]
	s_add_nc_u64 s[8:9], s[8:9], s[10:11]
	v_add_co_u32 v18, s1, s14, v9
	s_lshl_b32 s25, s22, 4
	v_add_co_ci_u32_e64 v19, null, s15, 0, s1
	v_add_co_u32 v20, s1, s8, v9
	v_cmp_gt_u32_e64 s0, s22, v0
	v_add_lshl_u32 v10, v1, v0, 4
	v_lshlrev_b32_e32 v11, 4, v2
	v_add_nc_u32_e32 v17, s25, v9
	s_wait_alu 0xf1ff
	v_add_co_ci_u32_e64 v21, null, s9, 0, s1
	s_lshl_b64 s[6:7], s[28:29], 4
	s_lshl_b64 s[8:9], s[30:31], 4
	;; [unrolled: 1-line block ×3, first 2 shown]
	s_wait_alu 0xfffe
	s_sub_nc_u64 s[18:19], 0, s[6:7]
	s_add_co_i32 s16, s25, 16
	s_lshl_b64 s[10:11], s[12:13], 4
	s_sub_nc_u64 s[12:13], 0, s[8:9]
	s_branch .LBB15_4
.LBB15_2:                               ;   in Loop: Header=BB15_4 Depth=1
	s_wait_alu 0xfffe
	s_or_b32 exec_lo, exec_lo, s17
.LBB15_3:                               ;   in Loop: Header=BB15_4 Depth=1
	s_add_co_i32 s2, s2, 0x10000
	s_delay_alu instid0(SALU_CYCLE_1)
	s_cmp_lt_u32 s2, s23
	s_cbranch_scc0 .LBB15_43
.LBB15_4:                               ; =>This Loop Header: Depth=1
                                        ;     Child Loop BB15_8 Depth 2
                                        ;     Child Loop BB15_12 Depth 2
	;; [unrolled: 1-line block ×3, first 2 shown]
                                        ;       Child Loop BB15_31 Depth 3
                                        ;     Child Loop BB15_38 Depth 2
                                        ;     Child Loop BB15_42 Depth 2
	s_and_not1_b32 vcc_lo, exec_lo, s24
	s_wait_alu 0xfffe
	s_cbranch_vccnz .LBB15_3
; %bb.5:                                ;   in Loop: Header=BB15_4 Depth=1
	s_and_saveexec_b32 s17, s0
	s_cbranch_execz .LBB15_13
; %bb.6:                                ;   in Loop: Header=BB15_4 Depth=1
	s_mul_u64 s[14:15], s[4:5], s[2:3]
	s_and_not1_b32 vcc_lo, exec_lo, s20
	s_mov_b32 s1, -1
	s_wait_alu 0xfffe
	s_cbranch_vccnz .LBB15_10
; %bb.7:                                ;   in Loop: Header=BB15_4 Depth=1
	v_add_co_u32 v1, vcc_lo, v12, s14
	s_wait_alu 0xfffd
	v_add_co_ci_u32_e64 v2, null, s15, v13, vcc_lo
	v_mov_b32_e32 v3, v11
	s_mov_b32 s26, 0
	s_mov_b32 s27, s22
.LBB15_8:                               ;   Parent Loop BB15_4 Depth=1
                                        ; =>  This Inner Loop Header: Depth=2
	global_load_b128 v[4:7], v[1:2], off
	s_wait_alu 0xfffe
	s_add_co_i32 s27, s27, -1
	v_add_co_u32 v1, vcc_lo, v1, s18
	s_wait_alu 0xfffe
	v_cmp_le_u32_e64 s1, s27, v0
	s_wait_alu 0xfffd
	v_add_co_ci_u32_e64 v2, null, s19, v2, vcc_lo
	s_or_b32 s26, s1, s26
	s_wait_loadcnt 0x0
	ds_store_2addr_b64 v3, v[4:5], v[6:7] offset1:1
	v_add_nc_u32_e32 v3, s25, v3
	s_wait_alu 0xfffe
	s_and_not1_b32 exec_lo, exec_lo, s26
	s_cbranch_execnz .LBB15_8
; %bb.9:                                ;   in Loop: Header=BB15_4 Depth=1
	s_or_b32 exec_lo, exec_lo, s26
	s_mov_b32 s1, 0
.LBB15_10:                              ;   in Loop: Header=BB15_4 Depth=1
	s_wait_alu 0xfffe
	s_and_b32 vcc_lo, exec_lo, s1
	s_wait_alu 0xfffe
	s_cbranch_vccz .LBB15_13
; %bb.11:                               ;   in Loop: Header=BB15_4 Depth=1
	v_add_co_u32 v1, vcc_lo, v15, s14
	s_wait_alu 0xfffd
	v_add_co_ci_u32_e64 v2, null, s15, v16, vcc_lo
	v_dual_mov_b32 v3, v9 :: v_dual_mov_b32 v4, v14
	s_mov_b32 s14, 0
.LBB15_12:                              ;   Parent Loop BB15_4 Depth=1
                                        ; =>  This Inner Loop Header: Depth=2
	global_load_b128 v[5:8], v[1:2], off
	v_add_nc_u32_e32 v4, -1, v4
	v_add_co_u32 v1, vcc_lo, v1, s6
	s_wait_alu 0xfffd
	v_add_co_ci_u32_e64 v2, null, s7, v2, vcc_lo
	s_delay_alu instid0(VALU_DEP_3)
	v_cmp_eq_u32_e64 s1, 0, v4
	s_wait_alu 0xfffe
	s_or_b32 s14, s1, s14
	s_wait_loadcnt 0x0
	ds_store_2addr_b64 v3, v[5:6], v[7:8] offset1:1
	v_add_nc_u32_e32 v3, s25, v3
	s_wait_alu 0xfffe
	s_and_not1_b32 exec_lo, exec_lo, s14
	s_cbranch_execnz .LBB15_12
.LBB15_13:                              ;   in Loop: Header=BB15_4 Depth=1
	s_wait_alu 0xfffe
	s_or_b32 exec_lo, exec_lo, s17
	s_wait_dscnt 0x0
	s_barrier_signal -1
	s_barrier_wait -1
	global_inv scope:SCOPE_SE
	s_and_saveexec_b32 s14, s0
	s_cbranch_execz .LBB15_24
; %bb.14:                               ;   in Loop: Header=BB15_4 Depth=1
	s_and_not1_b32 vcc_lo, exec_lo, s21
	s_wait_alu 0xfffe
	s_cbranch_vccnz .LBB15_22
; %bb.15:                               ;   in Loop: Header=BB15_4 Depth=1
	ds_load_b128 v[1:4], v10
	v_mov_b32_e32 v7, 0
	v_dual_mov_b32 v8, 0 :: v_dual_mov_b32 v5, 0
	v_mov_b32_e32 v6, 0x3ff00000
	s_wait_dscnt 0x0
	v_cmp_neq_f64_e32 vcc_lo, 0, v[1:2]
	v_cmp_neq_f64_e64 s1, 0, v[3:4]
	s_or_b32 s15, vcc_lo, s1
	s_wait_alu 0xfffe
	s_and_saveexec_b32 s1, s15
	s_cbranch_execz .LBB15_21
; %bb.16:                               ;   in Loop: Header=BB15_4 Depth=1
	v_cmp_ngt_f64_e64 s15, |v[1:2]|, |v[3:4]|
                                        ; implicit-def: $vgpr7_vgpr8
	s_and_saveexec_b32 s17, s15
	s_wait_alu 0xfffe
	s_xor_b32 s15, exec_lo, s17
	s_cbranch_execz .LBB15_18
; %bb.17:                               ;   in Loop: Header=BB15_4 Depth=1
	v_div_scale_f64 v[5:6], null, v[3:4], v[3:4], v[1:2]
	v_div_scale_f64 v[24:25], vcc_lo, v[1:2], v[3:4], v[1:2]
	s_delay_alu instid0(VALU_DEP_2) | instskip(NEXT) | instid1(TRANS32_DEP_1)
	v_rcp_f64_e32 v[7:8], v[5:6]
	v_fma_f64 v[22:23], -v[5:6], v[7:8], 1.0
	s_delay_alu instid0(VALU_DEP_1) | instskip(NEXT) | instid1(VALU_DEP_1)
	v_fma_f64 v[7:8], v[7:8], v[22:23], v[7:8]
	v_fma_f64 v[22:23], -v[5:6], v[7:8], 1.0
	s_delay_alu instid0(VALU_DEP_1) | instskip(NEXT) | instid1(VALU_DEP_1)
	v_fma_f64 v[7:8], v[7:8], v[22:23], v[7:8]
	v_mul_f64_e32 v[22:23], v[24:25], v[7:8]
	s_delay_alu instid0(VALU_DEP_1) | instskip(SKIP_1) | instid1(VALU_DEP_1)
	v_fma_f64 v[5:6], -v[5:6], v[22:23], v[24:25]
	s_wait_alu 0xfffd
	v_div_fmas_f64 v[5:6], v[5:6], v[7:8], v[22:23]
	s_delay_alu instid0(VALU_DEP_1) | instskip(NEXT) | instid1(VALU_DEP_1)
	v_div_fixup_f64 v[5:6], v[5:6], v[3:4], v[1:2]
	v_fma_f64 v[1:2], v[1:2], v[5:6], v[3:4]
	s_delay_alu instid0(VALU_DEP_1) | instskip(NEXT) | instid1(VALU_DEP_1)
	v_div_scale_f64 v[3:4], null, v[1:2], v[1:2], 1.0
	v_rcp_f64_e32 v[7:8], v[3:4]
	s_delay_alu instid0(TRANS32_DEP_1) | instskip(NEXT) | instid1(VALU_DEP_1)
	v_fma_f64 v[22:23], -v[3:4], v[7:8], 1.0
	v_fma_f64 v[7:8], v[7:8], v[22:23], v[7:8]
	s_delay_alu instid0(VALU_DEP_1) | instskip(NEXT) | instid1(VALU_DEP_1)
	v_fma_f64 v[22:23], -v[3:4], v[7:8], 1.0
	v_fma_f64 v[7:8], v[7:8], v[22:23], v[7:8]
	v_div_scale_f64 v[22:23], vcc_lo, 1.0, v[1:2], 1.0
	s_delay_alu instid0(VALU_DEP_1) | instskip(NEXT) | instid1(VALU_DEP_1)
	v_mul_f64_e32 v[24:25], v[22:23], v[7:8]
	v_fma_f64 v[3:4], -v[3:4], v[24:25], v[22:23]
	s_wait_alu 0xfffd
	s_delay_alu instid0(VALU_DEP_1) | instskip(NEXT) | instid1(VALU_DEP_1)
	v_div_fmas_f64 v[3:4], v[3:4], v[7:8], v[24:25]
	v_div_fixup_f64 v[7:8], v[3:4], v[1:2], 1.0
                                        ; implicit-def: $vgpr1_vgpr2
	s_delay_alu instid0(VALU_DEP_1)
	v_mul_f64_e32 v[5:6], v[5:6], v[7:8]
	v_xor_b32_e32 v8, 0x80000000, v8
.LBB15_18:                              ;   in Loop: Header=BB15_4 Depth=1
	s_wait_alu 0xfffe
	s_and_not1_saveexec_b32 s15, s15
	s_cbranch_execz .LBB15_20
; %bb.19:                               ;   in Loop: Header=BB15_4 Depth=1
	v_div_scale_f64 v[5:6], null, v[1:2], v[1:2], v[3:4]
	v_div_scale_f64 v[24:25], vcc_lo, v[3:4], v[1:2], v[3:4]
	s_delay_alu instid0(VALU_DEP_2) | instskip(NEXT) | instid1(TRANS32_DEP_1)
	v_rcp_f64_e32 v[7:8], v[5:6]
	v_fma_f64 v[22:23], -v[5:6], v[7:8], 1.0
	s_delay_alu instid0(VALU_DEP_1) | instskip(NEXT) | instid1(VALU_DEP_1)
	v_fma_f64 v[7:8], v[7:8], v[22:23], v[7:8]
	v_fma_f64 v[22:23], -v[5:6], v[7:8], 1.0
	s_delay_alu instid0(VALU_DEP_1) | instskip(NEXT) | instid1(VALU_DEP_1)
	v_fma_f64 v[7:8], v[7:8], v[22:23], v[7:8]
	v_mul_f64_e32 v[22:23], v[24:25], v[7:8]
	s_delay_alu instid0(VALU_DEP_1) | instskip(SKIP_1) | instid1(VALU_DEP_1)
	v_fma_f64 v[5:6], -v[5:6], v[22:23], v[24:25]
	s_wait_alu 0xfffd
	v_div_fmas_f64 v[5:6], v[5:6], v[7:8], v[22:23]
	s_delay_alu instid0(VALU_DEP_1) | instskip(NEXT) | instid1(VALU_DEP_1)
	v_div_fixup_f64 v[7:8], v[5:6], v[1:2], v[3:4]
	v_fma_f64 v[1:2], v[3:4], v[7:8], v[1:2]
	s_delay_alu instid0(VALU_DEP_1) | instskip(NEXT) | instid1(VALU_DEP_1)
	v_div_scale_f64 v[3:4], null, v[1:2], v[1:2], 1.0
	v_rcp_f64_e32 v[5:6], v[3:4]
	s_delay_alu instid0(TRANS32_DEP_1) | instskip(NEXT) | instid1(VALU_DEP_1)
	v_fma_f64 v[22:23], -v[3:4], v[5:6], 1.0
	v_fma_f64 v[5:6], v[5:6], v[22:23], v[5:6]
	s_delay_alu instid0(VALU_DEP_1) | instskip(NEXT) | instid1(VALU_DEP_1)
	v_fma_f64 v[22:23], -v[3:4], v[5:6], 1.0
	v_fma_f64 v[5:6], v[5:6], v[22:23], v[5:6]
	v_div_scale_f64 v[22:23], vcc_lo, 1.0, v[1:2], 1.0
	s_delay_alu instid0(VALU_DEP_1) | instskip(NEXT) | instid1(VALU_DEP_1)
	v_mul_f64_e32 v[24:25], v[22:23], v[5:6]
	v_fma_f64 v[3:4], -v[3:4], v[24:25], v[22:23]
	s_wait_alu 0xfffd
	s_delay_alu instid0(VALU_DEP_1) | instskip(NEXT) | instid1(VALU_DEP_1)
	v_div_fmas_f64 v[3:4], v[3:4], v[5:6], v[24:25]
	v_div_fixup_f64 v[5:6], v[3:4], v[1:2], 1.0
	s_delay_alu instid0(VALU_DEP_1)
	v_mul_f64_e64 v[7:8], v[7:8], -v[5:6]
.LBB15_20:                              ;   in Loop: Header=BB15_4 Depth=1
	s_wait_alu 0xfffe
	s_or_b32 exec_lo, exec_lo, s15
.LBB15_21:                              ;   in Loop: Header=BB15_4 Depth=1
	s_wait_alu 0xfffe
	s_or_b32 exec_lo, exec_lo, s1
	s_branch .LBB15_23
.LBB15_22:                              ;   in Loop: Header=BB15_4 Depth=1
	v_mov_b32_e32 v7, 0
	v_dual_mov_b32 v8, 0 :: v_dual_mov_b32 v5, 0
	v_mov_b32_e32 v6, 0x3ff00000
.LBB15_23:                              ;   in Loop: Header=BB15_4 Depth=1
	ds_store_b128 v10, v[5:8]
.LBB15_24:                              ;   in Loop: Header=BB15_4 Depth=1
	s_wait_alu 0xfffe
	s_or_b32 exec_lo, exec_lo, s14
	v_mov_b32_e32 v5, v17
	s_mov_b32 s1, 0
	s_mov_b32 s14, 16
	s_wait_loadcnt_dscnt 0x0
	s_barrier_signal -1
	s_barrier_wait -1
	global_inv scope:SCOPE_SE
	s_branch .LBB15_26
.LBB15_25:                              ;   in Loop: Header=BB15_26 Depth=2
	v_add_nc_u32_e32 v5, s25, v5
	s_add_co_i32 s14, s14, s16
	s_cmp_eq_u32 s1, s22
	s_wait_loadcnt 0x0
	s_barrier_signal -1
	s_barrier_wait -1
	global_inv scope:SCOPE_SE
	s_cbranch_scc1 .LBB15_35
.LBB15_26:                              ;   Parent Loop BB15_4 Depth=1
                                        ; =>  This Loop Header: Depth=2
                                        ;       Child Loop BB15_31 Depth 3
	v_mov_b32_e32 v1, 0
	v_dual_mov_b32 v2, 0 :: v_dual_mov_b32 v3, 0
	v_mov_b32_e32 v4, 0
	s_wait_alu 0xfffe
	s_mul_i32 s15, s1, s22
	s_mov_b32 s17, exec_lo
	v_cmpx_lt_u32_e64 s1, v0
	s_cbranch_execz .LBB15_28
; %bb.27:                               ;   in Loop: Header=BB15_26 Depth=2
	s_wait_alu 0xfffe
	s_lshl_b32 s26, s15, 4
	s_lshl_b32 s27, s1, 4
	s_wait_alu 0xfffe
	v_add_nc_u32_e32 v6, s26, v9
	s_add_co_i32 s27, s27, s26
	s_wait_alu 0xfffe
	v_mov_b32_e32 v1, s27
	ds_load_b128 v[1:4], v1
	ds_load_b128 v[22:25], v6
	s_wait_dscnt 0x0
	v_mul_f64_e32 v[6:7], v[3:4], v[24:25]
	v_mul_f64_e32 v[24:25], v[1:2], v[24:25]
	s_delay_alu instid0(VALU_DEP_2) | instskip(NEXT) | instid1(VALU_DEP_2)
	v_fma_f64 v[1:2], v[1:2], v[22:23], -v[6:7]
	v_fma_f64 v[3:4], v[3:4], v[22:23], v[24:25]
	s_delay_alu instid0(VALU_DEP_2) | instskip(NEXT) | instid1(VALU_DEP_2)
	v_add_f64_e32 v[1:2], 0, v[1:2]
	v_add_f64_e32 v[3:4], 0, v[3:4]
.LBB15_28:                              ;   in Loop: Header=BB15_26 Depth=2
	s_wait_alu 0xfffe
	s_or_b32 exec_lo, exec_lo, s17
	s_add_co_i32 s1, s1, 1
	s_wait_loadcnt 0x0
	s_wait_alu 0xfffe
	s_cmp_ge_i32 s1, s22
	s_barrier_signal -1
	s_barrier_wait -1
	global_inv scope:SCOPE_SE
	s_cbranch_scc1 .LBB15_25
; %bb.29:                               ;   in Loop: Header=BB15_26 Depth=2
	v_lshl_add_u32 v6, s15, 4, v9
	v_mov_b32_e32 v7, v5
	s_mov_b32 s15, s14
	s_mov_b32 s17, s1
	s_branch .LBB15_31
.LBB15_30:                              ;   in Loop: Header=BB15_31 Depth=3
	s_wait_alu 0xfffe
	s_or_b32 exec_lo, exec_lo, s26
	v_add_nc_u32_e32 v7, s25, v7
	s_add_co_i32 s17, s17, 1
	s_add_co_i32 s15, s15, 16
	s_wait_alu 0xfffe
	s_cmp_eq_u32 s22, s17
	s_wait_loadcnt 0x0
	s_barrier_signal -1
	s_barrier_wait -1
	global_inv scope:SCOPE_SE
	s_cbranch_scc1 .LBB15_25
.LBB15_31:                              ;   Parent Loop BB15_4 Depth=1
                                        ;     Parent Loop BB15_26 Depth=2
                                        ; =>    This Inner Loop Header: Depth=3
	s_mov_b32 s26, exec_lo
	s_wait_alu 0xfffe
	v_cmpx_eq_u32_e64 s17, v0
	s_cbranch_execz .LBB15_33
; %bb.32:                               ;   in Loop: Header=BB15_31 Depth=3
	ds_load_b128 v[22:25], v10
	v_add_f64_e64 v[26:27], -v[1:2], 0
	s_wait_dscnt 0x0
	v_mul_f64_e32 v[28:29], v[3:4], v[24:25]
	v_mul_f64_e32 v[30:31], v[3:4], v[22:23]
	s_delay_alu instid0(VALU_DEP_2) | instskip(NEXT) | instid1(VALU_DEP_2)
	v_fma_f64 v[22:23], v[26:27], v[22:23], v[28:29]
	v_fma_f64 v[24:25], v[26:27], v[24:25], -v[30:31]
	ds_store_b128 v6, v[22:25]
.LBB15_33:                              ;   in Loop: Header=BB15_31 Depth=3
	s_or_b32 exec_lo, exec_lo, s26
	s_delay_alu instid0(SALU_CYCLE_1)
	s_mov_b32 s26, exec_lo
	s_wait_loadcnt_dscnt 0x0
	s_barrier_signal -1
	s_barrier_wait -1
	global_inv scope:SCOPE_SE
	v_cmpx_lt_u32_e64 s17, v0
	s_cbranch_execz .LBB15_30
; %bb.34:                               ;   in Loop: Header=BB15_31 Depth=3
	v_mov_b32_e32 v8, s15
	ds_load_b128 v[22:25], v7
	ds_load_b128 v[26:29], v8
	s_wait_dscnt 0x0
	v_mul_f64_e32 v[30:31], v[28:29], v[24:25]
	v_mul_f64_e32 v[24:25], v[26:27], v[24:25]
	s_delay_alu instid0(VALU_DEP_2) | instskip(NEXT) | instid1(VALU_DEP_2)
	v_fma_f64 v[26:27], v[26:27], v[22:23], -v[30:31]
	v_fma_f64 v[22:23], v[28:29], v[22:23], v[24:25]
	s_delay_alu instid0(VALU_DEP_2) | instskip(NEXT) | instid1(VALU_DEP_2)
	v_add_f64_e32 v[1:2], v[1:2], v[26:27]
	v_add_f64_e32 v[3:4], v[3:4], v[22:23]
	s_branch .LBB15_30
.LBB15_35:                              ;   in Loop: Header=BB15_4 Depth=1
	s_and_saveexec_b32 s17, s0
	s_cbranch_execz .LBB15_2
; %bb.36:                               ;   in Loop: Header=BB15_4 Depth=1
	s_mul_u64 s[14:15], s[10:11], s[2:3]
	s_and_not1_b32 vcc_lo, exec_lo, s20
	s_mov_b32 s1, -1
	s_wait_alu 0xfffe
	s_cbranch_vccnz .LBB15_40
; %bb.37:                               ;   in Loop: Header=BB15_4 Depth=1
	v_add_co_u32 v1, vcc_lo, v18, s14
	s_wait_alu 0xfffd
	v_add_co_ci_u32_e64 v2, null, s15, v19, vcc_lo
	v_mov_b32_e32 v3, v11
	s_mov_b32 s26, 0
	s_mov_b32 s27, s22
.LBB15_38:                              ;   Parent Loop BB15_4 Depth=1
                                        ; =>  This Inner Loop Header: Depth=2
	ds_load_2addr_b64 v[4:7], v3 offset1:1
	s_wait_alu 0xfffe
	s_add_co_i32 s27, s27, -1
	v_add_nc_u32_e32 v3, s25, v3
	s_wait_alu 0xfffe
	v_cmp_le_u32_e32 vcc_lo, s27, v0
	s_or_b32 s26, vcc_lo, s26
	s_wait_dscnt 0x0
	global_store_b128 v[1:2], v[4:7], off
	v_add_co_u32 v1, s1, v1, s12
	s_wait_alu 0xf1ff
	v_add_co_ci_u32_e64 v2, null, s13, v2, s1
	s_wait_alu 0xfffe
	s_and_not1_b32 exec_lo, exec_lo, s26
	s_cbranch_execnz .LBB15_38
; %bb.39:                               ;   in Loop: Header=BB15_4 Depth=1
	s_or_b32 exec_lo, exec_lo, s26
	s_mov_b32 s1, 0
.LBB15_40:                              ;   in Loop: Header=BB15_4 Depth=1
	s_wait_alu 0xfffe
	s_and_b32 vcc_lo, exec_lo, s1
	s_wait_alu 0xfffe
	s_cbranch_vccz .LBB15_2
; %bb.41:                               ;   in Loop: Header=BB15_4 Depth=1
	v_add_co_u32 v1, vcc_lo, v20, s14
	s_wait_alu 0xfffd
	v_add_co_ci_u32_e64 v2, null, s15, v21, vcc_lo
	v_dual_mov_b32 v3, v9 :: v_dual_mov_b32 v4, v14
	s_mov_b32 s14, 0
.LBB15_42:                              ;   Parent Loop BB15_4 Depth=1
                                        ; =>  This Inner Loop Header: Depth=2
	ds_load_2addr_b64 v[5:8], v3 offset1:1
	v_add_nc_u32_e32 v4, -1, v4
	v_add_nc_u32_e32 v3, s25, v3
	s_delay_alu instid0(VALU_DEP_2)
	v_cmp_eq_u32_e32 vcc_lo, 0, v4
	s_wait_alu 0xfffe
	s_or_b32 s14, vcc_lo, s14
	s_wait_dscnt 0x0
	global_store_b128 v[1:2], v[5:8], off
	v_add_co_u32 v1, s1, v1, s8
	s_wait_alu 0xf1ff
	v_add_co_ci_u32_e64 v2, null, s9, v2, s1
	s_wait_alu 0xfffe
	s_and_not1_b32 exec_lo, exec_lo, s14
	s_cbranch_execnz .LBB15_42
	s_branch .LBB15_2
.LBB15_43:
	s_endpgm
	.section	.rodata,"a",@progbits
	.p2align	6, 0x0
	.amdhsa_kernel _ZL30rocblas_trtri_remainder_kernelILi16E19rocblas_complex_numIdEPKS1_PS1_Ev13rocblas_fill_17rocblas_diagonal_iT1_lillT2_lilli
		.amdhsa_group_segment_fixed_size 16384
		.amdhsa_private_segment_fixed_size 0
		.amdhsa_kernarg_size 100
		.amdhsa_user_sgpr_count 2
		.amdhsa_user_sgpr_dispatch_ptr 0
		.amdhsa_user_sgpr_queue_ptr 0
		.amdhsa_user_sgpr_kernarg_segment_ptr 1
		.amdhsa_user_sgpr_dispatch_id 0
		.amdhsa_user_sgpr_private_segment_size 0
		.amdhsa_wavefront_size32 1
		.amdhsa_uses_dynamic_stack 0
		.amdhsa_enable_private_segment 0
		.amdhsa_system_sgpr_workgroup_id_x 1
		.amdhsa_system_sgpr_workgroup_id_y 0
		.amdhsa_system_sgpr_workgroup_id_z 1
		.amdhsa_system_sgpr_workgroup_info 0
		.amdhsa_system_vgpr_workitem_id 0
		.amdhsa_next_free_vgpr 32
		.amdhsa_next_free_sgpr 40
		.amdhsa_reserve_vcc 1
		.amdhsa_float_round_mode_32 0
		.amdhsa_float_round_mode_16_64 0
		.amdhsa_float_denorm_mode_32 3
		.amdhsa_float_denorm_mode_16_64 3
		.amdhsa_fp16_overflow 0
		.amdhsa_workgroup_processor_mode 1
		.amdhsa_memory_ordered 1
		.amdhsa_forward_progress 1
		.amdhsa_inst_pref_size 18
		.amdhsa_round_robin_scheduling 0
		.amdhsa_exception_fp_ieee_invalid_op 0
		.amdhsa_exception_fp_denorm_src 0
		.amdhsa_exception_fp_ieee_div_zero 0
		.amdhsa_exception_fp_ieee_overflow 0
		.amdhsa_exception_fp_ieee_underflow 0
		.amdhsa_exception_fp_ieee_inexact 0
		.amdhsa_exception_int_div_zero 0
	.end_amdhsa_kernel
	.section	.text._ZL30rocblas_trtri_remainder_kernelILi16E19rocblas_complex_numIdEPKS1_PS1_Ev13rocblas_fill_17rocblas_diagonal_iT1_lillT2_lilli,"axG",@progbits,_ZL30rocblas_trtri_remainder_kernelILi16E19rocblas_complex_numIdEPKS1_PS1_Ev13rocblas_fill_17rocblas_diagonal_iT1_lillT2_lilli,comdat
.Lfunc_end15:
	.size	_ZL30rocblas_trtri_remainder_kernelILi16E19rocblas_complex_numIdEPKS1_PS1_Ev13rocblas_fill_17rocblas_diagonal_iT1_lillT2_lilli, .Lfunc_end15-_ZL30rocblas_trtri_remainder_kernelILi16E19rocblas_complex_numIdEPKS1_PS1_Ev13rocblas_fill_17rocblas_diagonal_iT1_lillT2_lilli
                                        ; -- End function
	.set _ZL30rocblas_trtri_remainder_kernelILi16E19rocblas_complex_numIdEPKS1_PS1_Ev13rocblas_fill_17rocblas_diagonal_iT1_lillT2_lilli.num_vgpr, 32
	.set _ZL30rocblas_trtri_remainder_kernelILi16E19rocblas_complex_numIdEPKS1_PS1_Ev13rocblas_fill_17rocblas_diagonal_iT1_lillT2_lilli.num_agpr, 0
	.set _ZL30rocblas_trtri_remainder_kernelILi16E19rocblas_complex_numIdEPKS1_PS1_Ev13rocblas_fill_17rocblas_diagonal_iT1_lillT2_lilli.numbered_sgpr, 40
	.set _ZL30rocblas_trtri_remainder_kernelILi16E19rocblas_complex_numIdEPKS1_PS1_Ev13rocblas_fill_17rocblas_diagonal_iT1_lillT2_lilli.num_named_barrier, 0
	.set _ZL30rocblas_trtri_remainder_kernelILi16E19rocblas_complex_numIdEPKS1_PS1_Ev13rocblas_fill_17rocblas_diagonal_iT1_lillT2_lilli.private_seg_size, 0
	.set _ZL30rocblas_trtri_remainder_kernelILi16E19rocblas_complex_numIdEPKS1_PS1_Ev13rocblas_fill_17rocblas_diagonal_iT1_lillT2_lilli.uses_vcc, 1
	.set _ZL30rocblas_trtri_remainder_kernelILi16E19rocblas_complex_numIdEPKS1_PS1_Ev13rocblas_fill_17rocblas_diagonal_iT1_lillT2_lilli.uses_flat_scratch, 0
	.set _ZL30rocblas_trtri_remainder_kernelILi16E19rocblas_complex_numIdEPKS1_PS1_Ev13rocblas_fill_17rocblas_diagonal_iT1_lillT2_lilli.has_dyn_sized_stack, 0
	.set _ZL30rocblas_trtri_remainder_kernelILi16E19rocblas_complex_numIdEPKS1_PS1_Ev13rocblas_fill_17rocblas_diagonal_iT1_lillT2_lilli.has_recursion, 0
	.set _ZL30rocblas_trtri_remainder_kernelILi16E19rocblas_complex_numIdEPKS1_PS1_Ev13rocblas_fill_17rocblas_diagonal_iT1_lillT2_lilli.has_indirect_call, 0
	.section	.AMDGPU.csdata,"",@progbits
; Kernel info:
; codeLenInByte = 2184
; TotalNumSgprs: 42
; NumVgprs: 32
; ScratchSize: 0
; MemoryBound: 0
; FloatMode: 240
; IeeeMode: 1
; LDSByteSize: 16384 bytes/workgroup (compile time only)
; SGPRBlocks: 0
; VGPRBlocks: 3
; NumSGPRsForWavesPerEU: 42
; NumVGPRsForWavesPerEU: 32
; Occupancy: 16
; WaveLimiterHint : 0
; COMPUTE_PGM_RSRC2:SCRATCH_EN: 0
; COMPUTE_PGM_RSRC2:USER_SGPR: 2
; COMPUTE_PGM_RSRC2:TRAP_HANDLER: 0
; COMPUTE_PGM_RSRC2:TGID_X_EN: 1
; COMPUTE_PGM_RSRC2:TGID_Y_EN: 0
; COMPUTE_PGM_RSRC2:TGID_Z_EN: 1
; COMPUTE_PGM_RSRC2:TIDIG_COMP_CNT: 0
	.section	.text._ZL18rocblas_trtri_fillILi128EfPKPfEvP15_rocblas_handle13rocblas_fill_ililT1_llii,"axG",@progbits,_ZL18rocblas_trtri_fillILi128EfPKPfEvP15_rocblas_handle13rocblas_fill_ililT1_llii,comdat
	.globl	_ZL18rocblas_trtri_fillILi128EfPKPfEvP15_rocblas_handle13rocblas_fill_ililT1_llii ; -- Begin function _ZL18rocblas_trtri_fillILi128EfPKPfEvP15_rocblas_handle13rocblas_fill_ililT1_llii
	.p2align	8
	.type	_ZL18rocblas_trtri_fillILi128EfPKPfEvP15_rocblas_handle13rocblas_fill_ililT1_llii,@function
_ZL18rocblas_trtri_fillILi128EfPKPfEvP15_rocblas_handle13rocblas_fill_ililT1_llii: ; @_ZL18rocblas_trtri_fillILi128EfPKPfEvP15_rocblas_handle13rocblas_fill_ililT1_llii
; %bb.0:
	s_load_b64 s[2:3], s[0:1], 0x40
	s_lshr_b32 s12, ttmp7, 16
	s_wait_kmcnt 0x0
	s_cmp_ge_u32 s12, s3
	s_cbranch_scc1 .LBB16_17
; %bb.1:
	s_clause 0x1
	s_load_b128 s[4:7], s[0:1], 0x8
	s_load_b32 s16, s[0:1], 0x18
	s_mov_b32 s14, ttmp9
	s_ashr_i32 s21, s2, 31
	s_mov_b32 s20, s2
	s_clause 0x1
	s_load_b128 s[8:11], s[0:1], 0x20
	s_load_b64 s[30:31], s[0:1], 0x30
	s_add_nc_u64 s[26:27], s[0:1], 0x48
	s_wait_kmcnt 0x0
	v_cvt_f32_u32_e32 v1, s6
	s_add_co_i32 s13, s5, -2
	s_cvt_f32_u32 s15, s7
	s_ashr_i32 s19, s5, 31
	s_add_co_i32 s24, s5, -1
	v_rcp_iflag_f32_e32 v3, v1
	v_cvt_f64_i32_e32 v[1:2], s13
	s_cvt_f32_u32 s13, s6
	s_mov_b32 s18, s5
	s_sub_co_i32 s5, 0, s6
	s_ashr_i32 s25, s24, 31
	s_wait_alu 0xfffe
	s_fmamk_f32 s2, s15, 0x4f800000, s13
	s_mov_b32 s15, 0
	s_mul_u64 s[20:21], s[6:7], s[20:21]
	s_lshl_b64 s[22:23], s[14:15], 7
	s_delay_alu instid0(SALU_CYCLE_1) | instskip(SKIP_3) | instid1(VALU_DEP_1)
	v_dual_mul_f32 v3, 0x4f7ffffe, v3 :: v_dual_mov_b32 v4, s23
	v_s_rcp_f32 s2, s2
	s_mul_u64 s[24:25], s[24:25], s[18:19]
	s_ashr_i32 s17, s16, 31
	v_cvt_u32_f32_e32 v6, v3
	v_or_b32_e32 v3, s22, v0
	s_lshl_b64 s[22:23], s[24:25], 2
	s_lshr_b64 s[24:25], s[24:25], 1
	s_mul_f32 s13, s2, 0x5f7ffffc
	v_mul_lo_u32 v5, s5, v6
	s_wait_alu 0xfffe
	s_add_nc_u64 s[22:23], s[22:23], -7
	s_lshl_b64 s[30:31], s[30:31], 2
	s_mul_f32 s2, s13, 0x2f800000
	s_sub_nc_u64 s[34:35], 0, s[6:7]
	s_wait_alu 0xfffe
	s_delay_alu instid0(SALU_CYCLE_1)
	s_trunc_f32 s5, s2
	v_mul_hi_u32 v0, v6, v5
	v_cmp_gt_u64_e64 s2, s[20:21], v[3:4]
	v_mov_b32_e32 v5, 0
	s_wait_alu 0xfffe
	s_fmamk_f32 s13, s5, 0xcf800000, s13
	s_cvt_u32_f32 s29, s5
	s_wait_alu 0xfffe
	s_delay_alu instid0(SALU_CYCLE_1)
	s_cvt_u32_f32 s28, s13
	v_add_nc_u32_e32 v0, v6, v0
	s_branch .LBB16_3
.LBB16_2:                               ;   in Loop: Header=BB16_3 Depth=1
	s_wait_alu 0xfffe
	s_or_b32 exec_lo, exec_lo, s1
	s_add_co_i32 s12, s12, 0x10000
	s_wait_alu 0xfffe
	s_cmp_lt_u32 s12, s3
	s_cbranch_scc0 .LBB16_17
.LBB16_3:                               ; =>This Loop Header: Depth=1
                                        ;     Child Loop BB16_6 Depth 2
	s_and_saveexec_b32 s1, s2
	s_cbranch_execz .LBB16_2
; %bb.4:                                ;   in Loop: Header=BB16_3 Depth=1
	s_mov_b32 s13, s15
	s_clause 0x1
	s_load_b32 s0, s[26:27], 0xc
	s_load_b32 s14, s[26:27], 0x0
	s_lshl_b64 s[36:37], s[12:13], 3
	v_dual_mov_b32 v8, v4 :: v_dual_mov_b32 v7, v3
	s_wait_alu 0xfffe
	s_add_nc_u64 s[36:37], s[10:11], s[36:37]
	s_mov_b32 s5, 0
	s_load_b64 s[38:39], s[36:37], 0x0
	s_mov_b32 s37, s15
	s_wait_kmcnt 0x0
	s_and_b32 s36, s0, 0xffff
	s_wait_alu 0xfffe
	s_mul_u64 s[36:37], s[36:37], s[14:15]
	s_add_nc_u64 s[38:39], s[38:39], s[30:31]
	s_branch .LBB16_6
.LBB16_5:                               ;   in Loop: Header=BB16_6 Depth=2
	v_add_co_u32 v7, vcc_lo, v7, s36
	s_wait_alu 0xfffd
	v_add_co_ci_u32_e64 v8, null, s37, v8, vcc_lo
	s_delay_alu instid0(VALU_DEP_1)
	v_cmp_le_u64_e32 vcc_lo, s[20:21], v[7:8]
	s_or_b32 s5, vcc_lo, s5
	s_wait_alu 0xfffe
	s_and_not1_b32 exec_lo, exec_lo, s5
	s_cbranch_execz .LBB16_2
.LBB16_6:                               ;   Parent Loop BB16_3 Depth=1
                                        ; =>  This Inner Loop Header: Depth=2
	v_or_b32_e32 v6, s7, v8
                                        ; implicit-def: $vgpr9_vgpr10
	s_mov_b32 s0, exec_lo
	s_delay_alu instid0(VALU_DEP_1)
	v_cmpx_ne_u64_e32 0, v[5:6]
	s_wait_alu 0xfffe
	s_xor_b32 s13, exec_lo, s0
	s_cbranch_execz .LBB16_8
; %bb.7:                                ;   in Loop: Header=BB16_6 Depth=2
	s_mul_u64 s[40:41], s[34:35], s[28:29]
	s_delay_alu instid0(SALU_CYCLE_1)
	s_mul_hi_u32 s43, s28, s41
	s_mul_i32 s42, s28, s41
	s_mul_hi_u32 s14, s28, s40
	s_mul_hi_u32 s0, s29, s40
	s_wait_alu 0xfffe
	s_add_nc_u64 s[42:43], s[14:15], s[42:43]
	s_mul_i32 s14, s29, s40
	s_mul_hi_u32 s33, s29, s41
	s_wait_alu 0xfffe
	s_add_co_u32 s14, s42, s14
	s_add_co_ci_u32 s14, s43, s0
	s_add_co_ci_u32 s43, s33, 0
	s_mul_i32 s42, s29, s41
	s_wait_alu 0xfffe
	s_add_nc_u64 s[40:41], s[14:15], s[42:43]
	s_delay_alu instid0(SALU_CYCLE_1) | instskip(SKIP_4) | instid1(SALU_CYCLE_1)
	s_add_co_u32 s40, s28, s40
	s_cselect_b32 s0, -1, 0
	s_wait_alu 0xfffe
	s_cmp_lg_u32 s0, 0
	s_add_co_ci_u32 s41, s29, s41
	s_mul_u64 s[42:43], s[34:35], s[40:41]
	s_delay_alu instid0(SALU_CYCLE_1)
	s_mul_hi_u32 s45, s40, s43
	s_mul_i32 s44, s40, s43
	s_mul_hi_u32 s14, s40, s42
	s_mul_i32 s33, s41, s42
	s_wait_alu 0xfffe
	s_add_nc_u64 s[44:45], s[14:15], s[44:45]
	s_mul_hi_u32 s0, s41, s42
	s_mul_hi_u32 s46, s41, s43
	s_add_co_u32 s14, s44, s33
	s_wait_alu 0xfffe
	s_add_co_ci_u32 s14, s45, s0
	s_mul_i32 s42, s41, s43
	s_add_co_ci_u32 s43, s46, 0
	s_wait_alu 0xfffe
	s_add_nc_u64 s[42:43], s[14:15], s[42:43]
	s_delay_alu instid0(SALU_CYCLE_1)
	s_add_co_u32 s0, s40, s42
	s_cselect_b32 s14, -1, 0
	s_wait_alu 0xfffe
	v_mul_hi_u32 v6, v7, s0
	s_cmp_lg_u32 s14, 0
	v_mad_co_u64_u32 v[11:12], null, v8, s0, 0
	s_add_co_ci_u32 s14, s41, s43
	s_wait_alu 0xfffe
	v_mad_co_u64_u32 v[9:10], null, v7, s14, 0
	v_mad_co_u64_u32 v[13:14], null, v8, s14, 0
	s_delay_alu instid0(VALU_DEP_2) | instskip(SKIP_1) | instid1(VALU_DEP_3)
	v_add_co_u32 v6, vcc_lo, v6, v9
	s_wait_alu 0xfffd
	v_add_co_ci_u32_e64 v9, null, 0, v10, vcc_lo
	s_delay_alu instid0(VALU_DEP_2) | instskip(SKIP_1) | instid1(VALU_DEP_2)
	v_add_co_u32 v6, vcc_lo, v6, v11
	s_wait_alu 0xfffd
	v_add_co_ci_u32_e32 v6, vcc_lo, v9, v12, vcc_lo
	s_wait_alu 0xfffd
	v_add_co_ci_u32_e32 v9, vcc_lo, 0, v14, vcc_lo
	s_delay_alu instid0(VALU_DEP_2) | instskip(SKIP_1) | instid1(VALU_DEP_2)
	v_add_co_u32 v6, vcc_lo, v6, v13
	s_wait_alu 0xfffd
	v_add_co_ci_u32_e64 v11, null, 0, v9, vcc_lo
	s_delay_alu instid0(VALU_DEP_2) | instskip(SKIP_1) | instid1(VALU_DEP_3)
	v_mul_lo_u32 v12, s7, v6
	v_mad_co_u64_u32 v[9:10], null, s6, v6, 0
	v_mul_lo_u32 v13, s6, v11
	s_delay_alu instid0(VALU_DEP_2) | instskip(NEXT) | instid1(VALU_DEP_2)
	v_sub_co_u32 v9, vcc_lo, v7, v9
	v_add3_u32 v10, v10, v13, v12
	v_add_co_u32 v13, s0, v6, 2
	s_wait_alu 0xf1ff
	v_add_co_ci_u32_e64 v14, null, 0, v11, s0
	s_delay_alu instid0(VALU_DEP_3) | instskip(SKIP_3) | instid1(VALU_DEP_3)
	v_sub_nc_u32_e32 v12, v8, v10
	v_sub_co_u32 v15, s0, v9, s6
	s_wait_alu 0xfffd
	v_sub_co_ci_u32_e64 v10, null, v8, v10, vcc_lo
	v_subrev_co_ci_u32_e64 v12, null, s7, v12, vcc_lo
	s_delay_alu instid0(VALU_DEP_3) | instskip(SKIP_1) | instid1(VALU_DEP_2)
	v_cmp_le_u32_e32 vcc_lo, s6, v15
	s_wait_alu 0xf1ff
	v_subrev_co_ci_u32_e64 v12, null, 0, v12, s0
	s_wait_alu 0xfffd
	v_cndmask_b32_e64 v15, 0, -1, vcc_lo
	v_cmp_eq_u32_e64 s0, s7, v10
	s_delay_alu instid0(VALU_DEP_3)
	v_cmp_le_u32_e32 vcc_lo, s7, v12
	s_wait_alu 0xfffd
	v_cndmask_b32_e64 v16, 0, -1, vcc_lo
	v_cmp_le_u32_e32 vcc_lo, s6, v9
	s_wait_alu 0xfffd
	v_cndmask_b32_e64 v9, 0, -1, vcc_lo
	;; [unrolled: 3-line block ×3, first 2 shown]
	v_cmp_eq_u32_e32 vcc_lo, s7, v12
	s_wait_alu 0xf1ff
	s_delay_alu instid0(VALU_DEP_2)
	v_cndmask_b32_e64 v9, v17, v9, s0
	s_wait_alu 0xfffd
	v_cndmask_b32_e32 v12, v16, v15, vcc_lo
	v_add_co_u32 v15, vcc_lo, v6, 1
	s_wait_alu 0xfffd
	v_add_co_ci_u32_e64 v16, null, 0, v11, vcc_lo
	s_delay_alu instid0(VALU_DEP_3) | instskip(SKIP_2) | instid1(VALU_DEP_3)
	v_cmp_ne_u32_e32 vcc_lo, 0, v12
	s_wait_alu 0xfffd
	v_cndmask_b32_e32 v12, v15, v13, vcc_lo
	v_cndmask_b32_e32 v10, v16, v14, vcc_lo
	v_cmp_ne_u32_e32 vcc_lo, 0, v9
	s_wait_alu 0xfffd
	s_delay_alu instid0(VALU_DEP_2)
	v_dual_cndmask_b32 v9, v6, v12 :: v_dual_cndmask_b32 v10, v11, v10
.LBB16_8:                               ;   in Loop: Header=BB16_6 Depth=2
	s_wait_alu 0xfffe
	s_and_not1_saveexec_b32 s0, s13
	s_cbranch_execz .LBB16_10
; %bb.9:                                ;   in Loop: Header=BB16_6 Depth=2
	v_mul_hi_u32 v6, v7, v0
	s_delay_alu instid0(VALU_DEP_1) | instskip(NEXT) | instid1(VALU_DEP_1)
	v_mul_lo_u32 v9, v6, s6
	v_sub_nc_u32_e32 v9, v7, v9
	s_delay_alu instid0(VALU_DEP_1) | instskip(SKIP_2) | instid1(VALU_DEP_2)
	v_subrev_nc_u32_e32 v11, s6, v9
	v_cmp_le_u32_e32 vcc_lo, s6, v9
	s_wait_alu 0xfffd
	v_dual_cndmask_b32 v9, v9, v11 :: v_dual_add_nc_u32 v10, 1, v6
	s_delay_alu instid0(VALU_DEP_1) | instskip(NEXT) | instid1(VALU_DEP_2)
	v_cndmask_b32_e32 v6, v6, v10, vcc_lo
	v_cmp_le_u32_e32 vcc_lo, s6, v9
	s_delay_alu instid0(VALU_DEP_2) | instskip(SKIP_1) | instid1(VALU_DEP_1)
	v_add_nc_u32_e32 v10, 1, v6
	s_wait_alu 0xfffd
	v_dual_cndmask_b32 v9, v6, v10 :: v_dual_mov_b32 v10, v5
.LBB16_10:                              ;   in Loop: Header=BB16_6 Depth=2
	s_wait_alu 0xfffe
	s_or_b32 exec_lo, exec_lo, s0
	s_delay_alu instid0(VALU_DEP_1) | instskip(NEXT) | instid1(VALU_DEP_2)
	v_mul_lo_u32 v6, v10, s6
	v_mul_lo_u32 v13, v9, s7
	v_mad_co_u64_u32 v[11:12], null, v9, s6, 0
	s_cmp_lt_i32 s4, 0x7a
	s_mov_b32 s0, -1
	v_add3_u32 v6, v12, v13, v6
	v_sub_co_u32 v11, vcc_lo, v7, v11
	s_wait_alu 0xfffd
	s_delay_alu instid0(VALU_DEP_2)
	v_sub_co_ci_u32_e64 v12, null, v8, v6, vcc_lo
	s_cbranch_scc1 .LBB16_14
; %bb.11:                               ;   in Loop: Header=BB16_6 Depth=2
	s_cmp_eq_u32 s4, 0x7a
	s_cbranch_scc0 .LBB16_13
; %bb.12:                               ;   in Loop: Header=BB16_6 Depth=2
	v_lshlrev_b64_e32 v[13:14], 3, v[11:12]
	s_delay_alu instid0(VALU_DEP_1) | instskip(SKIP_1) | instid1(VALU_DEP_2)
	v_sub_co_u32 v6, vcc_lo, s22, v13
	s_wait_alu 0xfffd
	v_sub_co_ci_u32_e64 v13, null, s23, v14, vcc_lo
	s_delay_alu instid0(VALU_DEP_2) | instskip(NEXT) | instid1(VALU_DEP_2)
	v_cvt_f64_u32_e32 v[15:16], v6
	v_cvt_f64_u32_e32 v[13:14], v13
	s_delay_alu instid0(VALU_DEP_1) | instskip(NEXT) | instid1(VALU_DEP_1)
	v_ldexp_f64 v[13:14], v[13:14], 32
	v_add_f64_e32 v[13:14], v[13:14], v[15:16]
	s_delay_alu instid0(VALU_DEP_1) | instskip(SKIP_2) | instid1(VALU_DEP_1)
	v_cmp_gt_f64_e32 vcc_lo, 0x10000000, v[13:14]
	s_wait_alu 0xfffd
	v_cndmask_b32_e64 v6, 0, 0x100, vcc_lo
	v_ldexp_f64 v[13:14], v[13:14], v6
	v_cndmask_b32_e64 v6, 0, 0xffffff80, vcc_lo
	s_delay_alu instid0(VALU_DEP_2) | instskip(SKIP_1) | instid1(TRANS32_DEP_1)
	v_rsq_f64_e32 v[15:16], v[13:14]
	v_cmp_class_f64_e64 vcc_lo, v[13:14], 0x260
	v_mul_f64_e32 v[17:18], v[13:14], v[15:16]
	v_mul_f64_e32 v[15:16], 0.5, v[15:16]
	s_delay_alu instid0(VALU_DEP_1) | instskip(NEXT) | instid1(VALU_DEP_1)
	v_fma_f64 v[19:20], -v[15:16], v[17:18], 0.5
	v_fma_f64 v[17:18], v[17:18], v[19:20], v[17:18]
	v_fma_f64 v[15:16], v[15:16], v[19:20], v[15:16]
	s_delay_alu instid0(VALU_DEP_2) | instskip(NEXT) | instid1(VALU_DEP_1)
	v_fma_f64 v[19:20], -v[17:18], v[17:18], v[13:14]
	v_fma_f64 v[17:18], v[19:20], v[15:16], v[17:18]
	s_delay_alu instid0(VALU_DEP_1) | instskip(NEXT) | instid1(VALU_DEP_1)
	v_fma_f64 v[19:20], -v[17:18], v[17:18], v[13:14]
	v_fma_f64 v[15:16], v[19:20], v[15:16], v[17:18]
	s_delay_alu instid0(VALU_DEP_1) | instskip(SKIP_2) | instid1(VALU_DEP_2)
	v_ldexp_f64 v[15:16], v[15:16], v6
	v_mul_lo_u32 v6, v10, s8
	s_wait_alu 0xfffd
	v_dual_cndmask_b32 v14, v16, v14 :: v_dual_cndmask_b32 v13, v15, v13
	s_delay_alu instid0(VALU_DEP_1) | instskip(NEXT) | instid1(VALU_DEP_1)
	v_fma_f64 v[13:14], v[13:14], 0.5, -0.5
	v_floor_f64_e32 v[13:14], v[13:14]
	s_delay_alu instid0(VALU_DEP_1) | instskip(NEXT) | instid1(VALU_DEP_1)
	v_add_f64_e64 v[13:14], v[1:2], -v[13:14]
	v_trunc_f64_e32 v[13:14], v[13:14]
	s_delay_alu instid0(VALU_DEP_1) | instskip(NEXT) | instid1(VALU_DEP_1)
	v_ldexp_f64 v[15:16], v[13:14], 0xffffffe0
	v_floor_f64_e32 v[15:16], v[15:16]
	s_delay_alu instid0(VALU_DEP_1) | instskip(SKIP_2) | instid1(VALU_DEP_3)
	v_fma_f64 v[13:14], 0xc1f00000, v[15:16], v[13:14]
	v_cvt_u32_f64_e32 v15, v[15:16]
	v_mad_co_u64_u32 v[16:17], null, v9, s8, 0
	v_cvt_u32_f64_e32 v14, v[13:14]
	v_mul_lo_u32 v13, v9, s9
	s_delay_alu instid0(VALU_DEP_1) | instskip(SKIP_1) | instid1(VALU_DEP_2)
	v_add3_u32 v17, v17, v13, v6
	v_mul_lo_u32 v6, v15, s16
	v_lshlrev_b64_e32 v[16:17], 2, v[16:17]
	v_sub_co_u32 v13, vcc_lo, s18, v14
	s_wait_alu 0xfffd
	v_sub_co_ci_u32_e64 v22, null, s19, v15, vcc_lo
	v_mul_lo_u32 v23, v14, s17
	v_mad_co_u64_u32 v[18:19], null, v14, s16, 0
	v_add_co_u32 v24, vcc_lo, v13, -1
	s_wait_alu 0xfffd
	v_add_co_ci_u32_e64 v25, null, -1, v22, vcc_lo
	v_sub_co_u32 v20, vcc_lo, v11, s24
	s_delay_alu instid0(VALU_DEP_4) | instskip(NEXT) | instid1(VALU_DEP_3)
	v_add3_u32 v19, v19, v23, v6
	v_mul_lo_u32 v6, v25, v13
	v_mul_lo_u32 v25, v24, v22
	v_mad_co_u64_u32 v[22:23], null, v24, v13, 0
	s_wait_alu 0xfffd
	v_subrev_co_ci_u32_e64 v21, null, s25, v12, vcc_lo
	v_lshlrev_b64_e32 v[18:19], 2, v[18:19]
	v_add_co_u32 v13, vcc_lo, s38, v16
	s_wait_alu 0xfffd
	v_add_co_ci_u32_e64 v16, null, s39, v17, vcc_lo
	v_lshlrev_b64_e32 v[20:21], 2, v[20:21]
	v_add3_u32 v23, v23, v25, v6
	v_add_co_u32 v6, vcc_lo, v13, v18
	s_wait_alu 0xfffd
	v_add_co_ci_u32_e64 v18, null, v16, v19, vcc_lo
	s_delay_alu instid0(VALU_DEP_3) | instskip(SKIP_4) | instid1(VALU_DEP_4)
	v_lshlrev_b64_e32 v[16:17], 1, v[22:23]
	v_lshlrev_b64_e32 v[13:14], 2, v[14:15]
	v_add_co_u32 v6, vcc_lo, v6, v20
	s_wait_alu 0xfffd
	v_add_co_ci_u32_e64 v15, null, v18, v21, vcc_lo
	v_and_b32_e32 v16, -4, v16
	s_delay_alu instid0(VALU_DEP_3) | instskip(SKIP_1) | instid1(VALU_DEP_3)
	v_add_co_u32 v6, vcc_lo, v6, v13
	s_wait_alu 0xfffd
	v_add_co_ci_u32_e64 v14, null, v15, v14, vcc_lo
	s_delay_alu instid0(VALU_DEP_2) | instskip(SKIP_1) | instid1(VALU_DEP_2)
	v_add_co_u32 v13, vcc_lo, v6, v16
	s_wait_alu 0xfffd
	v_add_co_ci_u32_e64 v14, null, v14, v17, vcc_lo
	flat_store_b32 v[13:14], v5 offset:4
.LBB16_13:                              ;   in Loop: Header=BB16_6 Depth=2
	s_mov_b32 s0, 0
.LBB16_14:                              ;   in Loop: Header=BB16_6 Depth=2
	s_wait_alu 0xfffe
	s_and_not1_b32 vcc_lo, exec_lo, s0
	s_wait_alu 0xfffe
	s_cbranch_vccnz .LBB16_5
; %bb.15:                               ;   in Loop: Header=BB16_6 Depth=2
	s_cmp_lg_u32 s4, 0x79
	s_cbranch_scc1 .LBB16_5
; %bb.16:                               ;   in Loop: Header=BB16_6 Depth=2
	v_lshlrev_b64_e32 v[13:14], 3, v[11:12]
	s_delay_alu instid0(VALU_DEP_1) | instskip(NEXT) | instid1(VALU_DEP_2)
	v_cvt_f64_u32_e32 v[14:15], v14
	v_or_b32_e32 v6, 1, v13
	s_delay_alu instid0(VALU_DEP_1) | instskip(NEXT) | instid1(VALU_DEP_3)
	v_cvt_f64_u32_e32 v[16:17], v6
	v_ldexp_f64 v[13:14], v[14:15], 32
	s_delay_alu instid0(VALU_DEP_1) | instskip(NEXT) | instid1(VALU_DEP_1)
	v_add_f64_e32 v[13:14], v[13:14], v[16:17]
	v_cmp_gt_f64_e32 vcc_lo, 0x10000000, v[13:14]
	s_wait_alu 0xfffd
	v_cndmask_b32_e64 v6, 0, 0x100, vcc_lo
	s_delay_alu instid0(VALU_DEP_1) | instskip(SKIP_1) | instid1(VALU_DEP_2)
	v_ldexp_f64 v[13:14], v[13:14], v6
	v_cndmask_b32_e64 v6, 0, 0xffffff80, vcc_lo
	v_rsq_f64_e32 v[15:16], v[13:14]
	v_cmp_class_f64_e64 vcc_lo, v[13:14], 0x260
	s_delay_alu instid0(TRANS32_DEP_1) | instskip(SKIP_1) | instid1(VALU_DEP_1)
	v_mul_f64_e32 v[17:18], v[13:14], v[15:16]
	v_mul_f64_e32 v[15:16], 0.5, v[15:16]
	v_fma_f64 v[19:20], -v[15:16], v[17:18], 0.5
	s_delay_alu instid0(VALU_DEP_1) | instskip(SKIP_1) | instid1(VALU_DEP_2)
	v_fma_f64 v[17:18], v[17:18], v[19:20], v[17:18]
	v_fma_f64 v[15:16], v[15:16], v[19:20], v[15:16]
	v_fma_f64 v[19:20], -v[17:18], v[17:18], v[13:14]
	s_delay_alu instid0(VALU_DEP_1) | instskip(NEXT) | instid1(VALU_DEP_1)
	v_fma_f64 v[17:18], v[19:20], v[15:16], v[17:18]
	v_fma_f64 v[19:20], -v[17:18], v[17:18], v[13:14]
	s_delay_alu instid0(VALU_DEP_1) | instskip(SKIP_1) | instid1(VALU_DEP_2)
	v_fma_f64 v[15:16], v[19:20], v[15:16], v[17:18]
	v_mul_lo_u32 v18, v9, s9
	v_ldexp_f64 v[15:16], v[15:16], v6
	v_mul_lo_u32 v6, v10, s8
	v_mad_co_u64_u32 v[9:10], null, v9, s8, 0
	s_delay_alu instid0(VALU_DEP_1) | instskip(NEXT) | instid1(VALU_DEP_1)
	v_add3_u32 v10, v10, v18, v6
	v_lshlrev_b64_e32 v[9:10], 2, v[9:10]
	s_wait_alu 0xfffd
	v_dual_cndmask_b32 v14, v16, v14 :: v_dual_cndmask_b32 v13, v15, v13
	s_delay_alu instid0(VALU_DEP_1) | instskip(NEXT) | instid1(VALU_DEP_1)
	v_add_f64_e32 v[13:14], -1.0, v[13:14]
	v_mul_f64_e32 v[13:14], 0.5, v[13:14]
	s_delay_alu instid0(VALU_DEP_1) | instskip(NEXT) | instid1(VALU_DEP_1)
	v_trunc_f64_e32 v[13:14], v[13:14]
	v_ldexp_f64 v[15:16], v[13:14], 0xffffffe0
	s_delay_alu instid0(VALU_DEP_1) | instskip(NEXT) | instid1(VALU_DEP_1)
	v_floor_f64_e32 v[15:16], v[15:16]
	v_fma_f64 v[13:14], 0xc1f00000, v[15:16], v[13:14]
	v_cvt_u32_f64_e32 v15, v[15:16]
	s_delay_alu instid0(VALU_DEP_2) | instskip(NEXT) | instid1(VALU_DEP_1)
	v_cvt_u32_f64_e32 v14, v[13:14]
	v_mad_co_u64_u32 v[16:17], null, v14, v14, v[14:15]
	v_mul_lo_u32 v19, v14, v15
	v_mul_lo_u32 v15, s16, v15
	v_mul_lo_u32 v20, s17, v14
	v_mad_co_u64_u32 v[13:14], null, s16, v14, s[16:17]
	s_delay_alu instid0(VALU_DEP_4) | instskip(NEXT) | instid1(VALU_DEP_2)
	v_add3_u32 v17, v19, v17, v19
	v_add3_u32 v14, v20, v14, v15
	s_delay_alu instid0(VALU_DEP_2) | instskip(NEXT) | instid1(VALU_DEP_2)
	v_lshrrev_b64 v[15:16], 1, v[16:17]
	v_lshlrev_b64_e32 v[13:14], 2, v[13:14]
	s_delay_alu instid0(VALU_DEP_2) | instskip(SKIP_1) | instid1(VALU_DEP_3)
	v_sub_co_u32 v11, vcc_lo, v11, v15
	s_wait_alu 0xfffd
	v_sub_co_ci_u32_e64 v12, null, v12, v16, vcc_lo
	v_add_co_u32 v6, vcc_lo, s38, v9
	s_wait_alu 0xfffd
	v_add_co_ci_u32_e64 v15, null, s39, v10, vcc_lo
	s_delay_alu instid0(VALU_DEP_3) | instskip(NEXT) | instid1(VALU_DEP_3)
	v_lshlrev_b64_e32 v[9:10], 2, v[11:12]
	v_add_co_u32 v6, vcc_lo, v6, v13
	s_wait_alu 0xfffd
	s_delay_alu instid0(VALU_DEP_3) | instskip(NEXT) | instid1(VALU_DEP_2)
	v_add_co_ci_u32_e64 v11, null, v15, v14, vcc_lo
	v_add_co_u32 v9, vcc_lo, v6, v9
	s_wait_alu 0xfffd
	s_delay_alu instid0(VALU_DEP_2)
	v_add_co_ci_u32_e64 v10, null, v11, v10, vcc_lo
	flat_store_b32 v[9:10], v5
	s_branch .LBB16_5
.LBB16_17:
	s_endpgm
	.section	.rodata,"a",@progbits
	.p2align	6, 0x0
	.amdhsa_kernel _ZL18rocblas_trtri_fillILi128EfPKPfEvP15_rocblas_handle13rocblas_fill_ililT1_llii
		.amdhsa_group_segment_fixed_size 0
		.amdhsa_private_segment_fixed_size 0
		.amdhsa_kernarg_size 328
		.amdhsa_user_sgpr_count 2
		.amdhsa_user_sgpr_dispatch_ptr 0
		.amdhsa_user_sgpr_queue_ptr 0
		.amdhsa_user_sgpr_kernarg_segment_ptr 1
		.amdhsa_user_sgpr_dispatch_id 0
		.amdhsa_user_sgpr_private_segment_size 0
		.amdhsa_wavefront_size32 1
		.amdhsa_uses_dynamic_stack 0
		.amdhsa_enable_private_segment 0
		.amdhsa_system_sgpr_workgroup_id_x 1
		.amdhsa_system_sgpr_workgroup_id_y 0
		.amdhsa_system_sgpr_workgroup_id_z 1
		.amdhsa_system_sgpr_workgroup_info 0
		.amdhsa_system_vgpr_workitem_id 0
		.amdhsa_next_free_vgpr 26
		.amdhsa_next_free_sgpr 47
		.amdhsa_reserve_vcc 1
		.amdhsa_float_round_mode_32 0
		.amdhsa_float_round_mode_16_64 0
		.amdhsa_float_denorm_mode_32 3
		.amdhsa_float_denorm_mode_16_64 3
		.amdhsa_fp16_overflow 0
		.amdhsa_workgroup_processor_mode 1
		.amdhsa_memory_ordered 1
		.amdhsa_forward_progress 1
		.amdhsa_inst_pref_size 19
		.amdhsa_round_robin_scheduling 0
		.amdhsa_exception_fp_ieee_invalid_op 0
		.amdhsa_exception_fp_denorm_src 0
		.amdhsa_exception_fp_ieee_div_zero 0
		.amdhsa_exception_fp_ieee_overflow 0
		.amdhsa_exception_fp_ieee_underflow 0
		.amdhsa_exception_fp_ieee_inexact 0
		.amdhsa_exception_int_div_zero 0
	.end_amdhsa_kernel
	.section	.text._ZL18rocblas_trtri_fillILi128EfPKPfEvP15_rocblas_handle13rocblas_fill_ililT1_llii,"axG",@progbits,_ZL18rocblas_trtri_fillILi128EfPKPfEvP15_rocblas_handle13rocblas_fill_ililT1_llii,comdat
.Lfunc_end16:
	.size	_ZL18rocblas_trtri_fillILi128EfPKPfEvP15_rocblas_handle13rocblas_fill_ililT1_llii, .Lfunc_end16-_ZL18rocblas_trtri_fillILi128EfPKPfEvP15_rocblas_handle13rocblas_fill_ililT1_llii
                                        ; -- End function
	.set _ZL18rocblas_trtri_fillILi128EfPKPfEvP15_rocblas_handle13rocblas_fill_ililT1_llii.num_vgpr, 26
	.set _ZL18rocblas_trtri_fillILi128EfPKPfEvP15_rocblas_handle13rocblas_fill_ililT1_llii.num_agpr, 0
	.set _ZL18rocblas_trtri_fillILi128EfPKPfEvP15_rocblas_handle13rocblas_fill_ililT1_llii.numbered_sgpr, 47
	.set _ZL18rocblas_trtri_fillILi128EfPKPfEvP15_rocblas_handle13rocblas_fill_ililT1_llii.num_named_barrier, 0
	.set _ZL18rocblas_trtri_fillILi128EfPKPfEvP15_rocblas_handle13rocblas_fill_ililT1_llii.private_seg_size, 0
	.set _ZL18rocblas_trtri_fillILi128EfPKPfEvP15_rocblas_handle13rocblas_fill_ililT1_llii.uses_vcc, 1
	.set _ZL18rocblas_trtri_fillILi128EfPKPfEvP15_rocblas_handle13rocblas_fill_ililT1_llii.uses_flat_scratch, 0
	.set _ZL18rocblas_trtri_fillILi128EfPKPfEvP15_rocblas_handle13rocblas_fill_ililT1_llii.has_dyn_sized_stack, 0
	.set _ZL18rocblas_trtri_fillILi128EfPKPfEvP15_rocblas_handle13rocblas_fill_ililT1_llii.has_recursion, 0
	.set _ZL18rocblas_trtri_fillILi128EfPKPfEvP15_rocblas_handle13rocblas_fill_ililT1_llii.has_indirect_call, 0
	.section	.AMDGPU.csdata,"",@progbits
; Kernel info:
; codeLenInByte = 2424
; TotalNumSgprs: 49
; NumVgprs: 26
; ScratchSize: 0
; MemoryBound: 0
; FloatMode: 240
; IeeeMode: 1
; LDSByteSize: 0 bytes/workgroup (compile time only)
; SGPRBlocks: 0
; VGPRBlocks: 3
; NumSGPRsForWavesPerEU: 49
; NumVGPRsForWavesPerEU: 26
; Occupancy: 16
; WaveLimiterHint : 1
; COMPUTE_PGM_RSRC2:SCRATCH_EN: 0
; COMPUTE_PGM_RSRC2:USER_SGPR: 2
; COMPUTE_PGM_RSRC2:TRAP_HANDLER: 0
; COMPUTE_PGM_RSRC2:TGID_X_EN: 1
; COMPUTE_PGM_RSRC2:TGID_Y_EN: 0
; COMPUTE_PGM_RSRC2:TGID_Z_EN: 1
; COMPUTE_PGM_RSRC2:TIDIG_COMP_CNT: 0
	.section	.text._ZL26rocblas_trtri_small_kernelILi16EfPKPKfPKPfEv13rocblas_fill_17rocblas_diagonal_iT1_lillT2_lilli,"axG",@progbits,_ZL26rocblas_trtri_small_kernelILi16EfPKPKfPKPfEv13rocblas_fill_17rocblas_diagonal_iT1_lillT2_lilli,comdat
	.globl	_ZL26rocblas_trtri_small_kernelILi16EfPKPKfPKPfEv13rocblas_fill_17rocblas_diagonal_iT1_lillT2_lilli ; -- Begin function _ZL26rocblas_trtri_small_kernelILi16EfPKPKfPKPfEv13rocblas_fill_17rocblas_diagonal_iT1_lillT2_lilli
	.p2align	8
	.type	_ZL26rocblas_trtri_small_kernelILi16EfPKPKfPKPfEv13rocblas_fill_17rocblas_diagonal_iT1_lillT2_lilli,@function
_ZL26rocblas_trtri_small_kernelILi16EfPKPKfPKPfEv13rocblas_fill_17rocblas_diagonal_iT1_lillT2_lilli: ; @_ZL26rocblas_trtri_small_kernelILi16EfPKPKfPKPfEv13rocblas_fill_17rocblas_diagonal_iT1_lillT2_lilli
; %bb.0:
	s_load_b32 s15, s[0:1], 0x60
	s_lshr_b32 s2, ttmp7, 16
	s_wait_kmcnt 0x0
	s_cmp_ge_u32 s2, s15
	s_cbranch_scc1 .LBB17_38
; %bb.1:
	s_clause 0x5
	s_load_b32 s22, s[0:1], 0x20
	s_load_b96 s[16:18], s[0:1], 0x40
	s_load_b128 s[4:7], s[0:1], 0x30
	s_load_b64 s[24:25], s[0:1], 0x58
	s_load_b96 s[12:14], s[0:1], 0x0
	s_load_b128 s[8:11], s[0:1], 0x10
	s_mov_b32 s3, 0
	s_mov_b32 s20, ttmp9
	s_mov_b32 s21, s3
	s_mov_b32 s27, s3
	v_dual_mov_b32 v7, 0 :: v_dual_lshlrev_b32 v8, 2, v0
	v_add_nc_u32_e32 v13, 1, v0
	v_lshlrev_b32_e32 v17, 2, v0
	s_wait_kmcnt 0x0
	s_ashr_i32 s23, s22, 31
	s_ashr_i32 s35, s18, 31
	s_mul_u64 s[4:5], s[4:5], s[20:21]
	s_mov_b32 s34, s18
	s_cmp_gt_i32 s14, 0
	s_mul_u64 s[20:21], s[24:25], s[20:21]
	s_cselect_b32 s28, -1, 0
	s_cmp_lg_u32 s12, 0x7a
	v_mul_lo_u32 v1, v0, s14
	s_cselect_b32 s29, -1, 0
	s_add_co_i32 s26, s14, -1
	s_cmp_lg_u32 s13, 0x84
	s_mul_u64 s[12:13], s[22:23], s[26:27]
	s_cselect_b32 s30, -1, 0
	s_lshl_b64 s[4:5], s[4:5], 2
	s_lshl_b64 s[12:13], s[12:13], 2
	;; [unrolled: 1-line block ×3, first 2 shown]
	s_add_nc_u64 s[12:13], s[4:5], s[12:13]
	s_lshl_b64 s[20:21], s[20:21], 2
	s_add_nc_u64 s[18:19], s[12:13], s[10:11]
	s_lshl_b64 s[12:13], s[22:23], 2
	s_mul_u64 s[22:23], s[34:35], s[26:27]
	s_lshl_b64 s[16:17], s[16:17], 2
	s_lshl_b64 s[22:23], s[22:23], 2
	v_sub_nc_u32_e32 v2, s26, v0
	s_add_nc_u64 s[22:23], s[20:21], s[22:23]
	v_add_co_u32 v11, s1, s18, v8
	s_add_nc_u64 s[22:23], s[22:23], s[16:17]
	s_lshl_b32 s31, s14, 2
	v_add_co_ci_u32_e64 v12, null, s19, 0, s1
	v_add_co_u32 v15, s1, s22, v8
	v_cmp_gt_u32_e64 s0, s14, v0
	v_add_lshl_u32 v9, v1, v0, 2
	v_lshlrev_b32_e32 v10, 2, v2
	v_add_nc_u32_e32 v14, s31, v8
	s_wait_alu 0xf1ff
	v_add_co_ci_u32_e64 v16, null, s23, 0, s1
	s_lshl_b64 s[22:23], s[34:35], 2
	s_sub_nc_u64 s[18:19], 0, s[12:13]
	s_add_co_i32 s33, s31, 4
	s_wait_alu 0xfffe
	s_sub_nc_u64 s[24:25], 0, s[22:23]
	s_branch .LBB17_4
.LBB17_2:                               ;   in Loop: Header=BB17_4 Depth=1
	s_wait_alu 0xfffe
	s_or_b32 exec_lo, exec_lo, s26
.LBB17_3:                               ;   in Loop: Header=BB17_4 Depth=1
	s_add_co_i32 s2, s2, 0x10000
	s_delay_alu instid0(SALU_CYCLE_1)
	s_cmp_lt_u32 s2, s15
	s_cbranch_scc0 .LBB17_38
.LBB17_4:                               ; =>This Loop Header: Depth=1
                                        ;     Child Loop BB17_8 Depth 2
                                        ;     Child Loop BB17_12 Depth 2
	;; [unrolled: 1-line block ×3, first 2 shown]
                                        ;       Child Loop BB17_26 Depth 3
                                        ;     Child Loop BB17_33 Depth 2
                                        ;     Child Loop BB17_37 Depth 2
	s_and_not1_b32 vcc_lo, exec_lo, s28
	s_wait_alu 0xfffe
	s_cbranch_vccnz .LBB17_3
; %bb.5:                                ;   in Loop: Header=BB17_4 Depth=1
	s_lshl_b64 s[26:27], s[2:3], 3
	s_wait_alu 0xfffe
	s_add_nc_u64 s[34:35], s[6:7], s[26:27]
	global_load_b64 v[1:2], v7, s[34:35]
	s_and_saveexec_b32 s34, s0
	s_cbranch_execz .LBB17_13
; %bb.6:                                ;   in Loop: Header=BB17_4 Depth=1
	s_add_nc_u64 s[26:27], s[8:9], s[26:27]
	s_and_not1_b32 vcc_lo, exec_lo, s29
	global_load_b64 v[3:4], v7, s[26:27]
	s_mov_b32 s1, -1
	s_wait_alu 0xfffe
	s_cbranch_vccnz .LBB17_10
; %bb.7:                                ;   in Loop: Header=BB17_4 Depth=1
	s_wait_loadcnt 0x0
	v_add_co_u32 v5, vcc_lo, v3, v11
	s_wait_alu 0xfffd
	v_add_co_ci_u32_e64 v6, null, v4, v12, vcc_lo
	v_mov_b32_e32 v18, v10
	s_mov_b32 s26, 0
	s_mov_b32 s27, s14
.LBB17_8:                               ;   Parent Loop BB17_4 Depth=1
                                        ; =>  This Inner Loop Header: Depth=2
	flat_load_b32 v19, v[5:6]
	s_wait_alu 0xfffe
	s_add_co_i32 s27, s27, -1
	v_add_co_u32 v5, vcc_lo, v5, s18
	s_wait_alu 0xfffe
	v_cmp_le_u32_e64 s1, s27, v0
	s_wait_alu 0xfffd
	v_add_co_ci_u32_e64 v6, null, s19, v6, vcc_lo
	s_or_b32 s26, s1, s26
	s_wait_loadcnt_dscnt 0x0
	ds_store_b32 v18, v19
	v_add_nc_u32_e32 v18, s31, v18
	s_wait_alu 0xfffe
	s_and_not1_b32 exec_lo, exec_lo, s26
	s_cbranch_execnz .LBB17_8
; %bb.9:                                ;   in Loop: Header=BB17_4 Depth=1
	s_or_b32 exec_lo, exec_lo, s26
	s_mov_b32 s1, 0
.LBB17_10:                              ;   in Loop: Header=BB17_4 Depth=1
	s_wait_alu 0xfffe
	s_and_b32 vcc_lo, exec_lo, s1
	s_wait_alu 0xfffe
	s_cbranch_vccz .LBB17_13
; %bb.11:                               ;   in Loop: Header=BB17_4 Depth=1
	s_wait_loadcnt 0x0
	v_add_co_u32 v3, vcc_lo, v3, s10
	s_wait_alu 0xfffd
	v_add_co_ci_u32_e64 v4, null, s11, v4, vcc_lo
	v_dual_mov_b32 v5, v8 :: v_dual_mov_b32 v6, v13
	s_delay_alu instid0(VALU_DEP_3) | instskip(SKIP_1) | instid1(VALU_DEP_3)
	v_add_co_u32 v3, vcc_lo, v3, s4
	s_wait_alu 0xfffd
	v_add_co_ci_u32_e64 v4, null, s5, v4, vcc_lo
	s_mov_b32 s26, 0
	v_add_co_u32 v3, vcc_lo, v3, v17
	s_wait_alu 0xfffd
	v_add_co_ci_u32_e64 v4, null, 0, v4, vcc_lo
.LBB17_12:                              ;   Parent Loop BB17_4 Depth=1
                                        ; =>  This Inner Loop Header: Depth=2
	flat_load_b32 v18, v[3:4]
	v_add_nc_u32_e32 v6, -1, v6
	v_add_co_u32 v3, vcc_lo, v3, s12
	s_wait_alu 0xfffd
	v_add_co_ci_u32_e64 v4, null, s13, v4, vcc_lo
	s_delay_alu instid0(VALU_DEP_3)
	v_cmp_eq_u32_e64 s1, 0, v6
	s_wait_alu 0xfffe
	s_or_b32 s26, s1, s26
	s_wait_loadcnt_dscnt 0x0
	ds_store_b32 v5, v18
	v_add_nc_u32_e32 v5, s31, v5
	s_wait_alu 0xfffe
	s_and_not1_b32 exec_lo, exec_lo, s26
	s_cbranch_execnz .LBB17_12
.LBB17_13:                              ;   in Loop: Header=BB17_4 Depth=1
	s_wait_alu 0xfffe
	s_or_b32 exec_lo, exec_lo, s34
	; wave barrier
	s_wait_loadcnt_dscnt 0x0
	global_inv scope:SCOPE_SE
	s_and_saveexec_b32 s1, s0
	s_cbranch_execz .LBB17_19
; %bb.14:                               ;   in Loop: Header=BB17_4 Depth=1
	v_mov_b32_e32 v4, 1.0
	s_and_not1_b32 vcc_lo, exec_lo, s30
	s_wait_alu 0xfffe
	s_cbranch_vccnz .LBB17_18
; %bb.15:                               ;   in Loop: Header=BB17_4 Depth=1
	ds_load_b32 v3, v9
	v_mov_b32_e32 v4, 1.0
	s_mov_b32 s26, exec_lo
	s_wait_dscnt 0x0
	v_cmpx_neq_f32_e32 0, v3
	s_cbranch_execz .LBB17_17
; %bb.16:                               ;   in Loop: Header=BB17_4 Depth=1
	v_div_scale_f32 v4, null, v3, v3, 1.0
	s_delay_alu instid0(VALU_DEP_1) | instskip(NEXT) | instid1(TRANS32_DEP_1)
	v_rcp_f32_e32 v5, v4
	v_fma_f32 v6, -v4, v5, 1.0
	s_delay_alu instid0(VALU_DEP_1) | instskip(SKIP_1) | instid1(VALU_DEP_1)
	v_fmac_f32_e32 v5, v6, v5
	v_div_scale_f32 v6, vcc_lo, 1.0, v3, 1.0
	v_mul_f32_e32 v18, v6, v5
	s_delay_alu instid0(VALU_DEP_1) | instskip(NEXT) | instid1(VALU_DEP_1)
	v_fma_f32 v19, -v4, v18, v6
	v_fmac_f32_e32 v18, v19, v5
	s_delay_alu instid0(VALU_DEP_1) | instskip(SKIP_1) | instid1(VALU_DEP_1)
	v_fma_f32 v4, -v4, v18, v6
	s_wait_alu 0xfffd
	v_div_fmas_f32 v4, v4, v5, v18
	s_delay_alu instid0(VALU_DEP_1)
	v_div_fixup_f32 v4, v4, v3, 1.0
.LBB17_17:                              ;   in Loop: Header=BB17_4 Depth=1
	s_wait_alu 0xfffe
	s_or_b32 exec_lo, exec_lo, s26
.LBB17_18:                              ;   in Loop: Header=BB17_4 Depth=1
	ds_store_b32 v9, v4
.LBB17_19:                              ;   in Loop: Header=BB17_4 Depth=1
	s_wait_alu 0xfffe
	s_or_b32 exec_lo, exec_lo, s1
	v_mov_b32_e32 v3, v14
	s_mov_b32 s1, 0
	s_mov_b32 s26, 4
	; wave barrier
	s_wait_loadcnt_dscnt 0x0
	global_inv scope:SCOPE_SE
	s_branch .LBB17_21
.LBB17_20:                              ;   in Loop: Header=BB17_21 Depth=2
	v_add_nc_u32_e32 v3, s31, v3
	s_add_co_i32 s26, s26, s33
	s_cmp_eq_u32 s1, s14
	s_wait_loadcnt 0x0
	; wave barrier
	global_inv scope:SCOPE_SE
	s_cbranch_scc1 .LBB17_30
.LBB17_21:                              ;   Parent Loop BB17_4 Depth=1
                                        ; =>  This Loop Header: Depth=2
                                        ;       Child Loop BB17_26 Depth 3
	v_mov_b32_e32 v4, 0
	s_wait_alu 0xfffe
	s_mul_i32 s27, s1, s14
	s_mov_b32 s34, exec_lo
	v_cmpx_lt_u32_e64 s1, v0
	s_cbranch_execz .LBB17_23
; %bb.22:                               ;   in Loop: Header=BB17_21 Depth=2
	s_lshl_b32 s35, s1, 2
	s_wait_alu 0xfffe
	s_lshl_b32 s36, s27, 2
	s_wait_alu 0xfffe
	s_add_co_i32 s35, s35, s36
	s_wait_alu 0xfffe
	v_dual_mov_b32 v5, s35 :: v_dual_add_nc_u32 v4, s36, v8
	ds_load_b32 v4, v4
	ds_load_b32 v5, v5
	s_wait_dscnt 0x0
	v_fma_f32 v4, v4, v5, 0
.LBB17_23:                              ;   in Loop: Header=BB17_21 Depth=2
	s_wait_alu 0xfffe
	s_or_b32 exec_lo, exec_lo, s34
	s_add_co_i32 s1, s1, 1
	s_wait_loadcnt 0x0
	s_wait_alu 0xfffe
	s_cmp_ge_i32 s1, s14
	; wave barrier
	global_inv scope:SCOPE_SE
	s_cbranch_scc1 .LBB17_20
; %bb.24:                               ;   in Loop: Header=BB17_21 Depth=2
	v_lshl_add_u32 v5, s27, 2, v8
	v_mov_b32_e32 v6, v3
	s_mov_b32 s27, s26
	s_mov_b32 s34, s1
	s_branch .LBB17_26
.LBB17_25:                              ;   in Loop: Header=BB17_26 Depth=3
	s_wait_alu 0xfffe
	s_or_b32 exec_lo, exec_lo, s35
	v_add_nc_u32_e32 v6, s31, v6
	s_add_co_i32 s34, s34, 1
	s_add_co_i32 s27, s27, 4
	s_wait_alu 0xfffe
	s_cmp_eq_u32 s14, s34
	s_wait_loadcnt 0x0
	; wave barrier
	global_inv scope:SCOPE_SE
	s_cbranch_scc1 .LBB17_20
.LBB17_26:                              ;   Parent Loop BB17_4 Depth=1
                                        ;     Parent Loop BB17_21 Depth=2
                                        ; =>    This Inner Loop Header: Depth=3
	s_mov_b32 s35, exec_lo
	s_wait_alu 0xfffe
	v_cmpx_eq_u32_e64 s34, v0
	s_cbranch_execz .LBB17_28
; %bb.27:                               ;   in Loop: Header=BB17_26 Depth=3
	ds_load_b32 v18, v9
	s_wait_dscnt 0x0
	v_mul_f32_e64 v18, -v4, v18
	ds_store_b32 v5, v18
.LBB17_28:                              ;   in Loop: Header=BB17_26 Depth=3
	s_or_b32 exec_lo, exec_lo, s35
	s_delay_alu instid0(SALU_CYCLE_1)
	s_mov_b32 s35, exec_lo
	; wave barrier
	s_wait_loadcnt_dscnt 0x0
	global_inv scope:SCOPE_SE
	v_cmpx_lt_u32_e64 s34, v0
	s_cbranch_execz .LBB17_25
; %bb.29:                               ;   in Loop: Header=BB17_26 Depth=3
	v_mov_b32_e32 v18, s27
	ds_load_b32 v19, v6
	ds_load_b32 v18, v18
	s_wait_dscnt 0x0
	v_fmac_f32_e32 v4, v19, v18
	s_branch .LBB17_25
.LBB17_30:                              ;   in Loop: Header=BB17_4 Depth=1
	s_and_saveexec_b32 s26, s0
	s_cbranch_execz .LBB17_2
; %bb.31:                               ;   in Loop: Header=BB17_4 Depth=1
	s_and_not1_b32 vcc_lo, exec_lo, s29
	s_mov_b32 s1, -1
	s_wait_alu 0xfffe
	s_cbranch_vccnz .LBB17_35
; %bb.32:                               ;   in Loop: Header=BB17_4 Depth=1
	v_add_co_u32 v3, vcc_lo, v1, v15
	s_wait_alu 0xfffd
	v_add_co_ci_u32_e64 v4, null, v2, v16, vcc_lo
	v_mov_b32_e32 v5, v10
	s_mov_b32 s27, 0
	s_mov_b32 s34, s14
.LBB17_33:                              ;   Parent Loop BB17_4 Depth=1
                                        ; =>  This Inner Loop Header: Depth=2
	ds_load_b32 v6, v5
	s_wait_alu 0xfffe
	s_add_co_i32 s34, s34, -1
	v_add_nc_u32_e32 v5, s31, v5
	s_wait_alu 0xfffe
	v_cmp_le_u32_e32 vcc_lo, s34, v0
	s_or_b32 s27, vcc_lo, s27
	s_wait_dscnt 0x0
	flat_store_b32 v[3:4], v6
	v_add_co_u32 v3, s1, v3, s24
	s_wait_alu 0xf1ff
	v_add_co_ci_u32_e64 v4, null, s25, v4, s1
	s_wait_alu 0xfffe
	s_and_not1_b32 exec_lo, exec_lo, s27
	s_cbranch_execnz .LBB17_33
; %bb.34:                               ;   in Loop: Header=BB17_4 Depth=1
	s_or_b32 exec_lo, exec_lo, s27
	s_mov_b32 s1, 0
.LBB17_35:                              ;   in Loop: Header=BB17_4 Depth=1
	s_wait_alu 0xfffe
	s_and_b32 vcc_lo, exec_lo, s1
	s_wait_alu 0xfffe
	s_cbranch_vccz .LBB17_2
; %bb.36:                               ;   in Loop: Header=BB17_4 Depth=1
	v_add_co_u32 v1, vcc_lo, v1, s16
	s_wait_alu 0xfffd
	v_add_co_ci_u32_e64 v2, null, s17, v2, vcc_lo
	v_dual_mov_b32 v3, v8 :: v_dual_mov_b32 v4, v13
	s_delay_alu instid0(VALU_DEP_3) | instskip(SKIP_1) | instid1(VALU_DEP_3)
	v_add_co_u32 v1, vcc_lo, v1, s20
	s_wait_alu 0xfffd
	v_add_co_ci_u32_e64 v2, null, s21, v2, vcc_lo
	s_mov_b32 s27, 0
	v_add_co_u32 v1, vcc_lo, v1, v17
	s_wait_alu 0xfffd
	v_add_co_ci_u32_e64 v2, null, 0, v2, vcc_lo
.LBB17_37:                              ;   Parent Loop BB17_4 Depth=1
                                        ; =>  This Inner Loop Header: Depth=2
	ds_load_b32 v5, v3
	v_add_nc_u32_e32 v4, -1, v4
	v_add_nc_u32_e32 v3, s31, v3
	s_delay_alu instid0(VALU_DEP_2)
	v_cmp_eq_u32_e32 vcc_lo, 0, v4
	s_wait_alu 0xfffe
	s_or_b32 s27, vcc_lo, s27
	s_wait_dscnt 0x0
	flat_store_b32 v[1:2], v5
	v_add_co_u32 v1, s1, v1, s22
	s_wait_alu 0xf1ff
	v_add_co_ci_u32_e64 v2, null, s23, v2, s1
	s_wait_alu 0xfffe
	s_and_not1_b32 exec_lo, exec_lo, s27
	s_cbranch_execnz .LBB17_37
	s_branch .LBB17_2
.LBB17_38:
	s_endpgm
	.section	.rodata,"a",@progbits
	.p2align	6, 0x0
	.amdhsa_kernel _ZL26rocblas_trtri_small_kernelILi16EfPKPKfPKPfEv13rocblas_fill_17rocblas_diagonal_iT1_lillT2_lilli
		.amdhsa_group_segment_fixed_size 1024
		.amdhsa_private_segment_fixed_size 0
		.amdhsa_kernarg_size 100
		.amdhsa_user_sgpr_count 2
		.amdhsa_user_sgpr_dispatch_ptr 0
		.amdhsa_user_sgpr_queue_ptr 0
		.amdhsa_user_sgpr_kernarg_segment_ptr 1
		.amdhsa_user_sgpr_dispatch_id 0
		.amdhsa_user_sgpr_private_segment_size 0
		.amdhsa_wavefront_size32 1
		.amdhsa_uses_dynamic_stack 0
		.amdhsa_enable_private_segment 0
		.amdhsa_system_sgpr_workgroup_id_x 1
		.amdhsa_system_sgpr_workgroup_id_y 0
		.amdhsa_system_sgpr_workgroup_id_z 1
		.amdhsa_system_sgpr_workgroup_info 0
		.amdhsa_system_vgpr_workitem_id 0
		.amdhsa_next_free_vgpr 20
		.amdhsa_next_free_sgpr 37
		.amdhsa_reserve_vcc 1
		.amdhsa_float_round_mode_32 0
		.amdhsa_float_round_mode_16_64 0
		.amdhsa_float_denorm_mode_32 3
		.amdhsa_float_denorm_mode_16_64 3
		.amdhsa_fp16_overflow 0
		.amdhsa_workgroup_processor_mode 1
		.amdhsa_memory_ordered 1
		.amdhsa_forward_progress 1
		.amdhsa_inst_pref_size 13
		.amdhsa_round_robin_scheduling 0
		.amdhsa_exception_fp_ieee_invalid_op 0
		.amdhsa_exception_fp_denorm_src 0
		.amdhsa_exception_fp_ieee_div_zero 0
		.amdhsa_exception_fp_ieee_overflow 0
		.amdhsa_exception_fp_ieee_underflow 0
		.amdhsa_exception_fp_ieee_inexact 0
		.amdhsa_exception_int_div_zero 0
	.end_amdhsa_kernel
	.section	.text._ZL26rocblas_trtri_small_kernelILi16EfPKPKfPKPfEv13rocblas_fill_17rocblas_diagonal_iT1_lillT2_lilli,"axG",@progbits,_ZL26rocblas_trtri_small_kernelILi16EfPKPKfPKPfEv13rocblas_fill_17rocblas_diagonal_iT1_lillT2_lilli,comdat
.Lfunc_end17:
	.size	_ZL26rocblas_trtri_small_kernelILi16EfPKPKfPKPfEv13rocblas_fill_17rocblas_diagonal_iT1_lillT2_lilli, .Lfunc_end17-_ZL26rocblas_trtri_small_kernelILi16EfPKPKfPKPfEv13rocblas_fill_17rocblas_diagonal_iT1_lillT2_lilli
                                        ; -- End function
	.set _ZL26rocblas_trtri_small_kernelILi16EfPKPKfPKPfEv13rocblas_fill_17rocblas_diagonal_iT1_lillT2_lilli.num_vgpr, 20
	.set _ZL26rocblas_trtri_small_kernelILi16EfPKPKfPKPfEv13rocblas_fill_17rocblas_diagonal_iT1_lillT2_lilli.num_agpr, 0
	.set _ZL26rocblas_trtri_small_kernelILi16EfPKPKfPKPfEv13rocblas_fill_17rocblas_diagonal_iT1_lillT2_lilli.numbered_sgpr, 37
	.set _ZL26rocblas_trtri_small_kernelILi16EfPKPKfPKPfEv13rocblas_fill_17rocblas_diagonal_iT1_lillT2_lilli.num_named_barrier, 0
	.set _ZL26rocblas_trtri_small_kernelILi16EfPKPKfPKPfEv13rocblas_fill_17rocblas_diagonal_iT1_lillT2_lilli.private_seg_size, 0
	.set _ZL26rocblas_trtri_small_kernelILi16EfPKPKfPKPfEv13rocblas_fill_17rocblas_diagonal_iT1_lillT2_lilli.uses_vcc, 1
	.set _ZL26rocblas_trtri_small_kernelILi16EfPKPKfPKPfEv13rocblas_fill_17rocblas_diagonal_iT1_lillT2_lilli.uses_flat_scratch, 0
	.set _ZL26rocblas_trtri_small_kernelILi16EfPKPKfPKPfEv13rocblas_fill_17rocblas_diagonal_iT1_lillT2_lilli.has_dyn_sized_stack, 0
	.set _ZL26rocblas_trtri_small_kernelILi16EfPKPKfPKPfEv13rocblas_fill_17rocblas_diagonal_iT1_lillT2_lilli.has_recursion, 0
	.set _ZL26rocblas_trtri_small_kernelILi16EfPKPKfPKPfEv13rocblas_fill_17rocblas_diagonal_iT1_lillT2_lilli.has_indirect_call, 0
	.section	.AMDGPU.csdata,"",@progbits
; Kernel info:
; codeLenInByte = 1636
; TotalNumSgprs: 39
; NumVgprs: 20
; ScratchSize: 0
; MemoryBound: 0
; FloatMode: 240
; IeeeMode: 1
; LDSByteSize: 1024 bytes/workgroup (compile time only)
; SGPRBlocks: 0
; VGPRBlocks: 2
; NumSGPRsForWavesPerEU: 39
; NumVGPRsForWavesPerEU: 20
; Occupancy: 16
; WaveLimiterHint : 0
; COMPUTE_PGM_RSRC2:SCRATCH_EN: 0
; COMPUTE_PGM_RSRC2:USER_SGPR: 2
; COMPUTE_PGM_RSRC2:TRAP_HANDLER: 0
; COMPUTE_PGM_RSRC2:TGID_X_EN: 1
; COMPUTE_PGM_RSRC2:TGID_Y_EN: 0
; COMPUTE_PGM_RSRC2:TGID_Z_EN: 1
; COMPUTE_PGM_RSRC2:TIDIG_COMP_CNT: 0
	.section	.text._ZL29rocblas_trtri_diagonal_kernelILi16EfPKPKfPKPfEv13rocblas_fill_17rocblas_diagonal_iT1_lillT2_lilli,"axG",@progbits,_ZL29rocblas_trtri_diagonal_kernelILi16EfPKPKfPKPfEv13rocblas_fill_17rocblas_diagonal_iT1_lillT2_lilli,comdat
	.globl	_ZL29rocblas_trtri_diagonal_kernelILi16EfPKPKfPKPfEv13rocblas_fill_17rocblas_diagonal_iT1_lillT2_lilli ; -- Begin function _ZL29rocblas_trtri_diagonal_kernelILi16EfPKPKfPKPfEv13rocblas_fill_17rocblas_diagonal_iT1_lillT2_lilli
	.p2align	8
	.type	_ZL29rocblas_trtri_diagonal_kernelILi16EfPKPKfPKPfEv13rocblas_fill_17rocblas_diagonal_iT1_lillT2_lilli,@function
_ZL29rocblas_trtri_diagonal_kernelILi16EfPKPKfPKPfEv13rocblas_fill_17rocblas_diagonal_iT1_lillT2_lilli: ; @_ZL29rocblas_trtri_diagonal_kernelILi16EfPKPKfPKPfEv13rocblas_fill_17rocblas_diagonal_iT1_lillT2_lilli
; %bb.0:
	s_load_b32 s33, s[0:1], 0x60
	s_lshr_b32 s20, ttmp7, 16
	s_wait_kmcnt 0x0
	s_cmp_ge_u32 s20, s33
	s_cbranch_scc1 .LBB18_81
; %bb.1:
	s_clause 0x5
	s_load_b96 s[4:6], s[0:1], 0x0
	s_load_b128 s[8:11], s[0:1], 0x10
	s_load_b32 s36, s[0:1], 0x20
	s_load_b96 s[16:18], s[0:1], 0x40
	s_load_b128 s[12:15], s[0:1], 0x30
	s_load_b64 s[0:1], s[0:1], 0x58
	s_mov_b32 s21, 0
	v_dual_mov_b32 v2, 0 :: v_dual_lshlrev_b32 v11, 2, v0
	s_mov_b32 s27, s21
	s_mov_b32 s23, s21
	;; [unrolled: 1-line block ×3, first 2 shown]
	s_wait_kmcnt 0x0
	s_ashr_i32 s2, s6, 31
	s_ashr_i32 s37, s36, 31
	s_lshr_b32 s2, s2, 27
	s_ashr_i32 s39, s18, 31
	s_add_co_i32 s2, s6, s2
	s_lshl_b64 s[28:29], s[36:37], 5
	s_ashr_i32 s2, s2, 5
	s_mov_b32 s38, s18
	s_cvt_f32_u32 s3, s2
	s_add_nc_u64 s[28:29], s[28:29], 32
	s_delay_alu instid0(SALU_CYCLE_2) | instskip(NEXT) | instid1(TRANS32_DEP_1)
	v_rcp_iflag_f32_e32 v1, s3
	v_readfirstlane_b32 s3, v1
	v_cvt_f32_ubyte0_e32 v1, v0
	s_mul_f32 s7, s3, 0x4f7ffffe
	s_mov_b32 s3, s21
	s_delay_alu instid0(SALU_CYCLE_2) | instskip(SKIP_1) | instid1(SALU_CYCLE_2)
	s_cvt_u32_f32 s19, s7
	s_sub_co_i32 s7, 0, s2
	s_mul_i32 s7, s7, s19
	s_delay_alu instid0(SALU_CYCLE_1) | instskip(SKIP_2) | instid1(SALU_CYCLE_1)
	s_mul_hi_u32 s22, s19, s7
	s_mov_b32 s7, s21
	s_add_co_i32 s19, s19, s22
	s_mul_hi_u32 s19, ttmp9, s19
	s_delay_alu instid0(SALU_CYCLE_1) | instskip(SKIP_2) | instid1(SALU_CYCLE_1)
	s_mul_i32 s22, s19, s2
	s_add_co_i32 s24, s19, 1
	s_sub_co_i32 s22, ttmp9, s22
	s_sub_co_i32 s26, s22, s2
	s_cmp_ge_u32 s22, s2
	s_cselect_b32 s19, s24, s19
	s_cselect_b32 s22, s26, s22
	s_add_co_i32 s24, s19, 1
	s_cmp_ge_u32 s22, s2
	s_cselect_b32 s26, s24, s19
	s_lshl_b64 s[30:31], s[38:39], 5
	s_mul_i32 s2, s26, s2
	s_mul_u64 s[40:41], s[0:1], s[26:27]
	s_wait_alu 0xfffe
	s_sub_co_i32 s2, ttmp9, s2
	s_mul_u64 s[34:35], s[12:13], s[26:27]
	s_wait_alu 0xfffe
	s_lshl_b32 s0, s2, 4
	s_add_nc_u64 s[12:13], s[30:31], 32
	s_sub_co_i32 s1, s6, s0
	s_mul_u64 s[28:29], s[28:29], s[2:3]
	s_min_u32 s22, s1, 16
	s_cmp_lg_u32 s6, s0
	v_cvt_f32_ubyte0_e32 v7, s22
	s_cselect_b32 s44, -1, 0
	s_lshl_b32 s19, s22, 1
	s_mul_u64 s[42:43], s[12:13], s[2:3]
	v_cmp_gt_u32_e64 s2, s19, v0
	v_rcp_iflag_f32_e32 v8, v7
	v_mov_b32_e32 v3, s22
	v_cmp_gt_u32_e32 vcc_lo, s22, v0
	s_cmp_lg_u32 s4, 0x7a
	s_wait_alu 0xf1ff
	v_cndmask_b32_e64 v4, 0, 0xc00, s2
	s_mul_u64 s[26:27], s[22:23], s[36:37]
	s_mul_u64 s[12:13], s[22:23], s[38:39]
	s_cselect_b32 s45, -1, 0
	s_cmp_lg_u32 s5, 0x84
	s_add_nc_u64 s[4:5], s[26:27], s[22:23]
	v_mul_f32_e32 v8, v1, v8
	v_cndmask_b32_e64 v9, s19, v3, s2
	s_add_nc_u64 s[48:49], s[12:13], s[22:23]
	s_cselect_b32 s46, -1, 0
	s_add_co_i32 s6, s22, -1
	v_trunc_f32_e32 v8, v8
	v_cndmask_b32_e64 v12, v9, 0, vcc_lo
	s_lshl_b32 s24, s22, 2
	v_cndmask_b32_e64 v17, v4, 0x800, vcc_lo
	v_cndmask_b32_e64 v4, s5, 0, vcc_lo
	v_fma_f32 v9, -v8, v7, v1
	v_cndmask_b32_e64 v3, s4, 0, vcc_lo
	v_cndmask_b32_e64 v6, s49, 0, vcc_lo
	;; [unrolled: 1-line block ×3, first 2 shown]
	s_lshl_b64 s[4:5], s[6:7], 2
	v_cvt_u32_f32_e32 v8, v8
	v_cmp_ge_f32_e64 vcc_lo, |v9|, v7
	s_lshl_b64 s[26:27], s[34:35], 2
	s_lshl_b64 s[28:29], s[28:29], 2
	s_wait_alu 0xfffe
	s_add_nc_u64 s[4:5], s[24:25], s[4:5]
	v_cmp_le_u32_e64 s3, s19, v0
	s_mul_i32 s19, s22, s6
	s_add_nc_u64 s[50:51], s[26:27], s[28:29]
	s_wait_alu 0xfffe
	s_mul_u64 s[4:5], s[4:5], s[36:37]
	v_lshl_add_u32 v10, s19, 2, v11
	v_lshlrev_b32_e32 v13, 2, v12
	s_wait_alu 0xfffd
	v_add_co_ci_u32_e64 v9, null, 0, v8, vcc_lo
	s_lshl_b64 s[10:11], s[10:11], 2
	s_wait_alu 0xfffe
	s_add_nc_u64 s[4:5], s[50:51], s[4:5]
	s_mul_u64 s[6:7], s[36:37], s[6:7]
	s_wait_alu 0xfffe
	s_add_nc_u64 s[4:5], s[4:5], s[10:11]
	v_mul_lo_u16 v15, v9, s22
	s_wait_alu 0xfffe
	v_add_co_u32 v8, s4, s4, v11
	v_sub_nc_u32_e32 v10, v10, v13
	v_and_b32_e32 v20, 0xffff, v9
	s_lshl_b64 s[6:7], s[6:7], 2
	v_lshlrev_b64_e32 v[3:4], 2, v[3:4]
	s_wait_alu 0xf1ff
	v_add_co_ci_u32_e64 v14, null, s5, 0, s4
	s_mul_i32 s0, s22, 3
	s_mul_i32 s1, s22, s22
	s_lshl_b64 s[30:31], s[36:37], 2
	s_add_nc_u64 s[36:37], s[50:51], s[6:7]
	v_cmp_gt_u32_e64 s0, s0, v0
	v_cmp_gt_u32_e64 s1, s1, v0
	v_sub_nc_u32_e32 v1, v0, v12
	v_sub_nc_u16 v15, v0, v15
	v_sub_co_u32 v0, vcc_lo, v8, v13
	v_add_nc_u32_e32 v23, v17, v10
	v_cmp_gt_u16_e64 s6, 16, v9
	v_mad_co_i64_i32 v[9:10], null, v20, s18, 0
	s_add_nc_u64 s[18:19], s[10:11], s[36:37]
	s_wait_alu 0xfffd
	v_subrev_co_ci_u32_e64 v19, null, 0, v14, vcc_lo
	s_wait_alu 0xfffe
	v_add_co_u32 v25, vcc_lo, s18, v3
	s_wait_alu 0xfffd
	v_add_co_ci_u32_e64 v26, null, s19, v4, vcc_lo
	s_add_nc_u64 s[18:19], s[10:11], s[50:51]
	v_add_co_u32 v25, vcc_lo, v25, v11
	s_wait_alu 0xfffd
	v_add_co_ci_u32_e64 v26, null, 0, v26, vcc_lo
	v_and_b32_e32 v21, 0xffff, v15
	s_delay_alu instid0(VALU_DEP_3) | instskip(SKIP_1) | instid1(VALU_DEP_3)
	v_sub_co_u32 v25, vcc_lo, v25, v13
	s_wait_alu 0xfffd
	v_subrev_co_ci_u32_e64 v26, null, 0, v26, vcc_lo
	s_wait_alu 0xfffe
	v_add_co_u32 v3, vcc_lo, s18, v3
	v_add_lshl_u32 v12, v12, s22, 2
	v_lshlrev_b32_e32 v24, 2, v21
	s_wait_alu 0xfffd
	v_add_co_ci_u32_e64 v4, null, s19, v4, vcc_lo
	v_add_co_u32 v3, vcc_lo, v3, v11
	v_sub_nc_u32_e32 v12, v12, v11
	s_wait_alu 0xfffd
	s_delay_alu instid0(VALU_DEP_3) | instskip(NEXT) | instid1(VALU_DEP_3)
	v_add_co_ci_u32_e64 v4, null, 0, v4, vcc_lo
	v_sub_co_u32 v28, vcc_lo, v3, v13
	v_sub_nc_u32_e32 v3, s24, v24
	v_add3_u32 v27, v12, v17, -4
	v_add_nc_u32_e32 v12, s24, v11
	s_add_nc_u64 s[18:19], s[22:23], -1
	v_mul_u32_u24_e32 v15, s22, v20
	v_mul_lo_u32 v3, s22, v3
	s_wait_alu 0xfffe
	s_mul_u64 s[18:19], s[18:19], s[38:39]
	v_sub_nc_u32_e32 v12, v12, v13
	s_wait_alu 0xfffe
	s_lshl_b64 s[36:37], s[18:19], 2
	s_lshl_b64 s[18:19], s[40:41], 2
	s_wait_alu 0xfffd
	v_subrev_co_ci_u32_e64 v29, null, 0, v4, vcc_lo
	v_add_nc_u32_e32 v31, v17, v12
	v_lshlrev_b32_e32 v12, 2, v15
	v_sub_nc_u32_e32 v15, v3, v24
	s_wait_alu 0xfffe
	s_add_nc_u64 s[40:41], s[36:37], s[18:19]
	s_lshl_b64 s[36:37], s[42:43], 2
	v_lshlrev_b64_e32 v[3:4], 2, v[5:6]
	s_add_nc_u64 s[40:41], s[40:41], s[36:37]
	s_lshl_b64 s[16:17], s[16:17], 2
	s_add_co_i32 s47, s22, 1
	s_add_nc_u64 s[40:41], s[16:17], s[40:41]
	v_add_nc_u32_e32 v7, s22, v1
	v_add_co_u32 v5, vcc_lo, s40, v3
	s_wait_alu 0xfffd
	v_add_co_ci_u32_e64 v6, null, s41, v4, vcc_lo
	v_mul_i32_i24_e32 v16, s47, v1
	s_delay_alu instid0(VALU_DEP_3)
	v_add_co_u32 v5, vcc_lo, v5, v11
	v_ashrrev_i32_e32 v8, 31, v7
	s_wait_alu 0xfffd
	v_add_co_ci_u32_e64 v6, null, 0, v6, vcc_lo
	v_lshl_add_u32 v22, v16, 2, v17
	v_lshlrev_b32_e32 v14, 6, v20
	v_add_nc_u32_e32 v16, s22, v21
	v_add_nc_u32_e32 v44, 0x400, v24
	v_sub_co_u32 v41, vcc_lo, v5, v13
	s_movk_i32 s7, 0x44
	s_wait_alu 0xfffd
	v_subrev_co_ci_u32_e64 v42, null, 0, v6, vcc_lo
	v_lshlrev_b64_e32 v[5:6], 2, v[7:8]
	v_lshlrev_b64_e32 v[7:8], 2, v[9:10]
	;; [unrolled: 1-line block ×3, first 2 shown]
	v_lshl_add_u32 v18, v1, 2, v17
	v_cmp_gt_i32_e64 s4, s22, v1
	v_cmp_lt_i32_e64 s5, -1, v1
	v_or_b32_e32 v30, 4, v17
	v_sub_nc_u32_e32 v32, 0xffc, v14
	v_add_nc_u32_e32 v33, -1, v20
	v_mad_u32_u24 v34, v20, s7, 0x800
	v_add_nc_u32_e32 v35, v14, v24
	v_add_nc_u32_e32 v36, -1, v21
	v_add3_u32 v37, v12, v24, 0x400
	v_add_nc_u32_e32 v38, 0x7fc, v15
	v_add_nc_u32_e32 v39, 0x400, v12
	;; [unrolled: 1-line block ×5, first 2 shown]
	v_lshlrev_b32_e32 v45, 2, v21
	v_lshlrev_b32_e32 v46, 2, v16
	s_lshl_b64 s[38:39], s[38:39], 2
	s_sub_co_i32 s48, 0, s24
	s_sub_nc_u64 s[34:35], 0, s[30:31]
	s_add_co_i32 s23, s24, 4
	s_sub_nc_u64 s[40:41], 0, s[38:39]
	s_branch .LBB18_4
.LBB18_2:                               ;   in Loop: Header=BB18_4 Depth=1
	s_wait_alu 0xfffe
	s_or_b32 exec_lo, exec_lo, s25
.LBB18_3:                               ;   in Loop: Header=BB18_4 Depth=1
	s_add_co_i32 s20, s20, 0x10000
	s_delay_alu instid0(SALU_CYCLE_1)
	s_cmp_lt_u32 s20, s33
	s_cbranch_scc0 .LBB18_81
.LBB18_4:                               ; =>This Loop Header: Depth=1
                                        ;     Child Loop BB18_9 Depth 2
                                        ;     Child Loop BB18_13 Depth 2
	;; [unrolled: 1-line block ×5, first 2 shown]
                                        ;       Child Loop BB18_41 Depth 3
                                        ;     Child Loop BB18_48 Depth 2
                                        ;     Child Loop BB18_55 Depth 2
                                        ;     Child Loop BB18_64 Depth 2
                                        ;     Child Loop BB18_69 Depth 2
                                        ;     Child Loop BB18_75 Depth 2
                                        ;     Child Loop BB18_80 Depth 2
	s_and_not1_b32 vcc_lo, exec_lo, s44
	s_wait_alu 0xfffe
	s_cbranch_vccnz .LBB18_3
; %bb.5:                                ;   in Loop: Header=BB18_4 Depth=1
	s_lshl_b64 s[42:43], s[20:21], 3
	s_wait_alu 0xfffe
	s_add_nc_u64 s[50:51], s[8:9], s[42:43]
	s_add_nc_u64 s[42:43], s[14:15], s[42:43]
	s_clause 0x1
	global_load_b64 v[13:14], v2, s[50:51]
	global_load_b64 v[11:12], v2, s[42:43]
	s_and_saveexec_b32 s7, s3
	s_wait_alu 0xfffe
	s_xor_b32 s7, exec_lo, s7
	s_cbranch_execz .LBB18_15
; %bb.6:                                ;   in Loop: Header=BB18_4 Depth=1
	s_and_saveexec_b32 s25, s0
	s_cbranch_execz .LBB18_14
; %bb.7:                                ;   in Loop: Header=BB18_4 Depth=1
	s_and_not1_b32 vcc_lo, exec_lo, s45
	s_mov_b32 s42, -1
	s_wait_alu 0xfffe
	s_cbranch_vccnz .LBB18_11
; %bb.8:                                ;   in Loop: Header=BB18_4 Depth=1
	s_wait_loadcnt 0x1
	v_add_co_u32 v15, vcc_lo, v13, v0
	s_wait_alu 0xfffd
	v_add_co_ci_u32_e64 v16, null, v14, v19, vcc_lo
	v_mov_b32_e32 v47, v23
	s_mov_b32 s42, s47
.LBB18_9:                               ;   Parent Loop BB18_4 Depth=1
                                        ; =>  This Inner Loop Header: Depth=2
	flat_load_b32 v48, v[15:16]
	v_add_co_u32 v15, vcc_lo, v15, s34
	s_wait_alu 0xfffd
	v_add_co_ci_u32_e64 v16, null, s35, v16, vcc_lo
	s_wait_alu 0xfffe
	s_add_co_i32 s42, s42, -1
	s_wait_alu 0xfffe
	s_cmp_gt_u32 s42, 1
	s_wait_loadcnt_dscnt 0x0
	ds_store_b32 v47, v48
	v_add_nc_u32_e32 v47, s48, v47
	s_cbranch_scc1 .LBB18_9
; %bb.10:                               ;   in Loop: Header=BB18_4 Depth=1
	s_mov_b32 s42, 0
.LBB18_11:                              ;   in Loop: Header=BB18_4 Depth=1
	s_wait_alu 0xfffe
	s_and_b32 vcc_lo, exec_lo, s42
	s_wait_alu 0xfffe
	s_cbranch_vccz .LBB18_14
; %bb.12:                               ;   in Loop: Header=BB18_4 Depth=1
	s_wait_loadcnt 0x1
	v_add_co_u32 v13, vcc_lo, v13, s10
	s_wait_alu 0xfffd
	v_add_co_ci_u32_e64 v14, null, s11, v14, vcc_lo
	v_mov_b32_e32 v15, v18
	s_delay_alu instid0(VALU_DEP_3) | instskip(SKIP_1) | instid1(VALU_DEP_3)
	v_add_co_u32 v13, vcc_lo, v13, s28
	s_wait_alu 0xfffd
	v_add_co_ci_u32_e64 v14, null, s29, v14, vcc_lo
	s_mov_b32 s42, s22
	v_add_co_u32 v13, vcc_lo, v13, s26
	s_wait_alu 0xfffd
	v_add_co_ci_u32_e64 v14, null, s27, v14, vcc_lo
	s_delay_alu instid0(VALU_DEP_2) | instskip(SKIP_1) | instid1(VALU_DEP_2)
	v_add_co_u32 v13, vcc_lo, v13, v5
	s_wait_alu 0xfffd
	v_add_co_ci_u32_e64 v14, null, v14, v6, vcc_lo
.LBB18_13:                              ;   Parent Loop BB18_4 Depth=1
                                        ; =>  This Inner Loop Header: Depth=2
	flat_load_b32 v16, v[13:14]
	v_add_co_u32 v13, vcc_lo, v13, s30
	s_wait_alu 0xfffd
	v_add_co_ci_u32_e64 v14, null, s31, v14, vcc_lo
	s_wait_alu 0xfffe
	s_add_co_i32 s42, s42, -1
	s_wait_alu 0xfffe
	s_cmp_eq_u32 s42, 0
	s_wait_loadcnt_dscnt 0x0
	ds_store_b32 v15, v16
	v_add_nc_u32_e32 v15, s24, v15
	s_cbranch_scc0 .LBB18_13
.LBB18_14:                              ;   in Loop: Header=BB18_4 Depth=1
	s_wait_alu 0xfffe
	s_or_b32 exec_lo, exec_lo, s25
                                        ; implicit-def: $vgpr13_vgpr14
.LBB18_15:                              ;   in Loop: Header=BB18_4 Depth=1
	s_wait_alu 0xfffe
	s_and_not1_saveexec_b32 s7, s7
	s_cbranch_execz .LBB18_27
; %bb.16:                               ;   in Loop: Header=BB18_4 Depth=1
	s_and_b32 vcc_lo, exec_lo, s45
	s_mov_b32 s25, -1
	s_wait_alu 0xfffe
	s_cbranch_vccz .LBB18_22
; %bb.17:                               ;   in Loop: Header=BB18_4 Depth=1
	s_wait_loadcnt 0x1
	v_add_co_u32 v15, vcc_lo, v13, v25
	s_wait_alu 0xfffd
	v_add_co_ci_u32_e64 v16, null, v14, v26, vcc_lo
	v_mov_b32_e32 v47, v27
	s_mov_b32 s25, s22
	s_branch .LBB18_19
.LBB18_18:                              ;   in Loop: Header=BB18_19 Depth=2
	s_or_b32 exec_lo, exec_lo, s42
	v_add_co_u32 v15, vcc_lo, v15, s34
	s_wait_loadcnt_dscnt 0x0
	ds_store_b32 v47, v48
	s_wait_alu 0xfffd
	v_add_co_ci_u32_e64 v16, null, s35, v16, vcc_lo
	v_add_nc_u32_e32 v47, s24, v47
	s_cmp_lt_i32 s25, 1
	s_cbranch_scc1 .LBB18_21
.LBB18_19:                              ;   Parent Loop BB18_4 Depth=1
                                        ; =>  This Inner Loop Header: Depth=2
	v_mov_b32_e32 v48, 0
	s_wait_alu 0xfffe
	s_add_co_i32 s25, s25, -1
	s_mov_b32 s42, exec_lo
	s_wait_alu 0xfffe
	v_cmpx_ge_i32_e64 s25, v1
	s_cbranch_execz .LBB18_18
; %bb.20:                               ;   in Loop: Header=BB18_19 Depth=2
	flat_load_b32 v48, v[15:16]
	s_branch .LBB18_18
.LBB18_21:                              ;   in Loop: Header=BB18_4 Depth=1
	s_mov_b32 s25, 0
.LBB18_22:                              ;   in Loop: Header=BB18_4 Depth=1
	s_wait_alu 0xfffe
	s_and_b32 vcc_lo, exec_lo, s25
	s_wait_alu 0xfffe
	s_cbranch_vccz .LBB18_27
; %bb.23:                               ;   in Loop: Header=BB18_4 Depth=1
	s_wait_loadcnt 0x1
	v_add_co_u32 v13, vcc_lo, v13, v28
	s_wait_alu 0xfffd
	v_add_co_ci_u32_e64 v14, null, v14, v29, vcc_lo
	v_mov_b32_e32 v15, v18
	s_mov_b32 s25, 0
	s_branch .LBB18_25
.LBB18_24:                              ;   in Loop: Header=BB18_25 Depth=2
	s_or_b32 exec_lo, exec_lo, s42
	v_add_co_u32 v13, vcc_lo, v13, s30
	s_wait_loadcnt_dscnt 0x0
	ds_store_b32 v15, v16
	s_wait_alu 0xfffd
	v_add_co_ci_u32_e64 v14, null, s31, v14, vcc_lo
	v_add_nc_u32_e32 v15, s24, v15
	s_add_co_i32 s25, s25, 1
	s_wait_alu 0xfffe
	s_cmp_eq_u32 s22, s25
	s_cbranch_scc1 .LBB18_27
.LBB18_25:                              ;   Parent Loop BB18_4 Depth=1
                                        ; =>  This Inner Loop Header: Depth=2
	v_mov_b32_e32 v16, 0
	s_mov_b32 s42, exec_lo
	s_wait_alu 0xfffe
	v_cmpx_le_i32_e64 s25, v1
	s_cbranch_execz .LBB18_24
; %bb.26:                               ;   in Loop: Header=BB18_25 Depth=2
	flat_load_b32 v16, v[13:14]
	s_branch .LBB18_24
.LBB18_27:                              ;   in Loop: Header=BB18_4 Depth=1
	s_wait_alu 0xfffe
	s_or_b32 exec_lo, exec_lo, s7
	s_wait_loadcnt_dscnt 0x0
	s_barrier_signal -1
	s_barrier_wait -1
	global_inv scope:SCOPE_SE
	s_and_saveexec_b32 s7, s2
	s_cbranch_execz .LBB18_33
; %bb.28:                               ;   in Loop: Header=BB18_4 Depth=1
	v_mov_b32_e32 v14, 1.0
	s_and_not1_b32 vcc_lo, exec_lo, s46
	s_wait_alu 0xfffe
	s_cbranch_vccnz .LBB18_32
; %bb.29:                               ;   in Loop: Header=BB18_4 Depth=1
	ds_load_b32 v13, v22
	v_mov_b32_e32 v14, 1.0
	s_mov_b32 s25, exec_lo
	s_wait_dscnt 0x0
	v_cmpx_neq_f32_e32 0, v13
	s_cbranch_execz .LBB18_31
; %bb.30:                               ;   in Loop: Header=BB18_4 Depth=1
	v_div_scale_f32 v14, null, v13, v13, 1.0
	s_delay_alu instid0(VALU_DEP_1) | instskip(NEXT) | instid1(TRANS32_DEP_1)
	v_rcp_f32_e32 v15, v14
	v_fma_f32 v16, -v14, v15, 1.0
	s_delay_alu instid0(VALU_DEP_1) | instskip(SKIP_1) | instid1(VALU_DEP_1)
	v_fmac_f32_e32 v15, v16, v15
	v_div_scale_f32 v16, vcc_lo, 1.0, v13, 1.0
	v_mul_f32_e32 v47, v16, v15
	s_delay_alu instid0(VALU_DEP_1) | instskip(NEXT) | instid1(VALU_DEP_1)
	v_fma_f32 v48, -v14, v47, v16
	v_fmac_f32_e32 v47, v48, v15
	s_delay_alu instid0(VALU_DEP_1) | instskip(SKIP_1) | instid1(VALU_DEP_1)
	v_fma_f32 v14, -v14, v47, v16
	s_wait_alu 0xfffd
	v_div_fmas_f32 v14, v14, v15, v47
	s_delay_alu instid0(VALU_DEP_1)
	v_div_fixup_f32 v14, v14, v13, 1.0
.LBB18_31:                              ;   in Loop: Header=BB18_4 Depth=1
	s_wait_alu 0xfffe
	s_or_b32 exec_lo, exec_lo, s25
.LBB18_32:                              ;   in Loop: Header=BB18_4 Depth=1
	ds_store_b32 v22, v14
.LBB18_33:                              ;   in Loop: Header=BB18_4 Depth=1
	s_wait_alu 0xfffe
	s_or_b32 exec_lo, exec_lo, s7
	s_wait_loadcnt_dscnt 0x0
	s_barrier_signal -1
	s_barrier_wait -1
	global_inv scope:SCOPE_SE
	s_and_saveexec_b32 s7, s2
	s_cbranch_execz .LBB18_45
; %bb.34:                               ;   in Loop: Header=BB18_4 Depth=1
	v_dual_mov_b32 v13, v31 :: v_dual_mov_b32 v14, v30
	s_mov_b32 s25, 0
	s_branch .LBB18_36
.LBB18_35:                              ;   in Loop: Header=BB18_36 Depth=2
	v_add_nc_u32_e32 v14, s23, v14
	v_add_nc_u32_e32 v13, s24, v13
	s_cmp_eq_u32 s25, s22
	s_cbranch_scc1 .LBB18_45
.LBB18_36:                              ;   Parent Loop BB18_4 Depth=1
                                        ; =>  This Loop Header: Depth=2
                                        ;       Child Loop BB18_41 Depth 3
	v_mov_b32_e32 v15, 0
	s_wait_alu 0xfffe
	s_mul_i32 s42, s25, s22
	s_mov_b32 s43, exec_lo
	v_cmpx_lt_i32_e64 s25, v1
	s_cbranch_execz .LBB18_38
; %bb.37:                               ;   in Loop: Header=BB18_36 Depth=2
	s_wait_alu 0xfffe
	s_lshl_b32 s49, s42, 2
	s_lshl_b32 s50, s25, 2
	s_wait_alu 0xfffe
	v_add_nc_u32_e32 v15, s49, v18
	v_add3_u32 v16, s49, s50, v17
	ds_load_b32 v15, v15
	ds_load_b32 v16, v16
	s_wait_dscnt 0x0
	v_fma_f32 v15, v15, v16, 0
.LBB18_38:                              ;   in Loop: Header=BB18_36 Depth=2
	s_wait_alu 0xfffe
	s_or_b32 exec_lo, exec_lo, s43
	s_add_co_i32 s25, s25, 1
	s_wait_alu 0xfffe
	s_cmp_ge_u32 s25, s22
	s_cbranch_scc1 .LBB18_35
; %bb.39:                               ;   in Loop: Header=BB18_36 Depth=2
	v_lshl_add_u32 v16, s42, 2, v18
	v_dual_mov_b32 v47, v13 :: v_dual_mov_b32 v48, v14
	s_mov_b32 s42, s25
	s_branch .LBB18_41
.LBB18_40:                              ;   in Loop: Header=BB18_41 Depth=3
	s_wait_alu 0xfffe
	s_or_b32 exec_lo, exec_lo, s43
	v_add_nc_u32_e32 v48, 4, v48
	v_add_nc_u32_e32 v47, s24, v47
	s_add_co_i32 s42, s42, 1
	s_wait_alu 0xfffe
	s_cmp_eq_u32 s22, s42
	s_cbranch_scc1 .LBB18_35
.LBB18_41:                              ;   Parent Loop BB18_4 Depth=1
                                        ;     Parent Loop BB18_36 Depth=2
                                        ; =>    This Inner Loop Header: Depth=3
	s_mov_b32 s43, exec_lo
	s_wait_alu 0xfffe
	v_cmpx_eq_u32_e64 s42, v1
	s_cbranch_execz .LBB18_43
; %bb.42:                               ;   in Loop: Header=BB18_41 Depth=3
	ds_load_b32 v49, v22
	s_wait_dscnt 0x0
	v_mul_f32_e64 v49, -v15, v49
	ds_store_b32 v16, v49
.LBB18_43:                              ;   in Loop: Header=BB18_41 Depth=3
	s_or_b32 exec_lo, exec_lo, s43
	s_delay_alu instid0(SALU_CYCLE_1)
	s_mov_b32 s43, exec_lo
	v_cmpx_lt_i32_e64 s42, v1
	s_cbranch_execz .LBB18_40
; %bb.44:                               ;   in Loop: Header=BB18_41 Depth=3
	ds_load_b32 v49, v47
	ds_load_b32 v50, v48
	s_wait_dscnt 0x0
	v_fmac_f32_e32 v15, v49, v50
	s_branch .LBB18_40
.LBB18_45:                              ;   in Loop: Header=BB18_4 Depth=1
	s_wait_alu 0xfffe
	s_or_b32 exec_lo, exec_lo, s7
	s_delay_alu instid0(SALU_CYCLE_1)
	s_and_b32 vcc_lo, exec_lo, s45
	s_mov_b32 s7, -1
	s_wait_loadcnt_dscnt 0x0
	s_barrier_signal -1
	s_barrier_wait -1
	global_inv scope:SCOPE_SE
	s_wait_alu 0xfffe
	s_cbranch_vccz .LBB18_51
; %bb.46:                               ;   in Loop: Header=BB18_4 Depth=1
	s_and_saveexec_b32 s7, s1
	s_cbranch_execz .LBB18_50
; %bb.47:                               ;   in Loop: Header=BB18_4 Depth=1
	v_dual_mov_b32 v13, 0 :: v_dual_mov_b32 v14, v24
	v_mov_b32_e32 v15, v32
	s_mov_b32 s42, -1
	s_mov_b32 s25, 0
.LBB18_48:                              ;   Parent Loop BB18_4 Depth=1
                                        ; =>  This Inner Loop Header: Depth=2
	ds_load_b32 v16, v14
	ds_load_b32 v47, v15
	s_wait_alu 0xfffe
	s_add_co_i32 s42, s42, 1
	v_add_nc_u32_e32 v15, -4, v15
	s_wait_alu 0xfffe
	v_cmp_ge_u32_e32 vcc_lo, s42, v20
	v_add_nc_u32_e32 v14, 64, v14
	s_or_b32 s25, vcc_lo, s25
	s_wait_dscnt 0x0
	v_fmac_f32_e32 v13, v16, v47
	s_wait_alu 0xfffe
	s_and_not1_b32 exec_lo, exec_lo, s25
	s_cbranch_execnz .LBB18_48
; %bb.49:                               ;   in Loop: Header=BB18_4 Depth=1
	s_or_b32 exec_lo, exec_lo, s25
	ds_store_b32 v44, v13
.LBB18_50:                              ;   in Loop: Header=BB18_4 Depth=1
	s_wait_alu 0xfffe
	s_or_b32 exec_lo, exec_lo, s7
	s_mov_b32 s7, 0
.LBB18_51:                              ;   in Loop: Header=BB18_4 Depth=1
	s_wait_alu 0xfffe
	s_and_not1_b32 vcc_lo, exec_lo, s7
	s_wait_alu 0xfffe
	s_cbranch_vccnz .LBB18_59
; %bb.52:                               ;   in Loop: Header=BB18_4 Depth=1
	s_and_saveexec_b32 s7, s1
	s_cbranch_execz .LBB18_58
; %bb.53:                               ;   in Loop: Header=BB18_4 Depth=1
	v_mov_b32_e32 v13, 0
	s_and_saveexec_b32 s25, s6
	s_cbranch_execz .LBB18_57
; %bb.54:                               ;   in Loop: Header=BB18_4 Depth=1
	v_dual_mov_b32 v13, 0 :: v_dual_mov_b32 v14, v35
	v_dual_mov_b32 v15, v34 :: v_dual_mov_b32 v16, v33
	s_mov_b32 s42, 0
.LBB18_55:                              ;   Parent Loop BB18_4 Depth=1
                                        ; =>  This Inner Loop Header: Depth=2
	ds_load_b32 v47, v14
	ds_load_b32 v48, v15
	v_add_nc_u32_e32 v16, 1, v16
	v_add_nc_u32_e32 v15, 4, v15
	;; [unrolled: 1-line block ×3, first 2 shown]
	s_delay_alu instid0(VALU_DEP_3)
	v_cmp_lt_u32_e32 vcc_lo, 14, v16
	s_wait_alu 0xfffe
	s_or_b32 s42, vcc_lo, s42
	s_wait_dscnt 0x0
	v_fmac_f32_e32 v13, v47, v48
	s_wait_alu 0xfffe
	s_and_not1_b32 exec_lo, exec_lo, s42
	s_cbranch_execnz .LBB18_55
; %bb.56:                               ;   in Loop: Header=BB18_4 Depth=1
	s_or_b32 exec_lo, exec_lo, s42
.LBB18_57:                              ;   in Loop: Header=BB18_4 Depth=1
	s_wait_alu 0xfffe
	s_or_b32 exec_lo, exec_lo, s25
	ds_store_b32 v44, v13
.LBB18_58:                              ;   in Loop: Header=BB18_4 Depth=1
	s_wait_alu 0xfffe
	s_or_b32 exec_lo, exec_lo, s7
.LBB18_59:                              ;   in Loop: Header=BB18_4 Depth=1
	v_add_co_u32 v13, vcc_lo, v11, s16
	s_wait_alu 0xfffd
	v_add_co_ci_u32_e64 v14, null, s17, v12, vcc_lo
	s_mov_b32 s7, -1
	v_add_co_u32 v13, vcc_lo, v13, s36
	s_wait_alu 0xfffd
	v_add_co_ci_u32_e64 v14, null, s37, v14, vcc_lo
	s_wait_loadcnt_dscnt 0x0
	s_delay_alu instid0(VALU_DEP_2) | instskip(SKIP_1) | instid1(VALU_DEP_2)
	v_add_co_u32 v13, vcc_lo, v13, s18
	s_wait_alu 0xfffd
	v_add_co_ci_u32_e64 v14, null, s19, v14, vcc_lo
	s_and_b32 vcc_lo, exec_lo, s45
	s_barrier_signal -1
	s_barrier_wait -1
	global_inv scope:SCOPE_SE
	s_wait_alu 0xfffe
	s_cbranch_vccnz .LBB18_62
; %bb.60:                               ;   in Loop: Header=BB18_4 Depth=1
	s_and_not1_b32 vcc_lo, exec_lo, s7
	s_wait_alu 0xfffe
	s_cbranch_vccz .LBB18_67
.LBB18_61:                              ;   in Loop: Header=BB18_4 Depth=1
	s_and_saveexec_b32 s25, s2
	s_cbranch_execz .LBB18_2
	s_branch .LBB18_72
.LBB18_62:                              ;   in Loop: Header=BB18_4 Depth=1
	s_and_saveexec_b32 s7, s1
	s_cbranch_execz .LBB18_66
; %bb.63:                               ;   in Loop: Header=BB18_4 Depth=1
	v_dual_mov_b32 v15, 0 :: v_dual_mov_b32 v16, v38
	v_dual_mov_b32 v47, v37 :: v_dual_mov_b32 v48, v36
	s_mov_b32 s25, 0
.LBB18_64:                              ;   Parent Loop BB18_4 Depth=1
                                        ; =>  This Inner Loop Header: Depth=2
	ds_load_b32 v49, v16
	ds_load_b32 v50, v47
	v_add_nc_u32_e32 v48, 1, v48
	v_add_nc_u32_e32 v47, 4, v47
	;; [unrolled: 1-line block ×3, first 2 shown]
	s_delay_alu instid0(VALU_DEP_3)
	v_cmp_lt_u32_e32 vcc_lo, 14, v48
	s_wait_alu 0xfffe
	s_or_b32 s25, vcc_lo, s25
	s_wait_dscnt 0x0
	v_fma_f32 v15, -v49, v50, v15
	s_wait_alu 0xfffe
	s_and_not1_b32 exec_lo, exec_lo, s25
	s_cbranch_execnz .LBB18_64
; %bb.65:                               ;   in Loop: Header=BB18_4 Depth=1
	s_or_b32 exec_lo, exec_lo, s25
	s_lshl_b64 s[42:43], s[12:13], 2
	s_wait_alu 0xfffe
	v_add_co_u32 v16, vcc_lo, v13, s42
	s_wait_alu 0xfffd
	v_add_co_ci_u32_e64 v47, null, s43, v14, vcc_lo
	s_delay_alu instid0(VALU_DEP_2) | instskip(SKIP_1) | instid1(VALU_DEP_2)
	v_add_co_u32 v16, vcc_lo, v16, v45
	s_wait_alu 0xfffd
	v_add_co_ci_u32_e64 v48, null, 0, v47, vcc_lo
	s_delay_alu instid0(VALU_DEP_2) | instskip(SKIP_1) | instid1(VALU_DEP_2)
	v_add_co_u32 v47, vcc_lo, v16, v7
	s_wait_alu 0xfffd
	v_add_co_ci_u32_e64 v48, null, v48, v8, vcc_lo
	flat_store_b32 v[47:48], v15
.LBB18_66:                              ;   in Loop: Header=BB18_4 Depth=1
	s_wait_alu 0xfffe
	s_or_b32 exec_lo, exec_lo, s7
	s_cbranch_execnz .LBB18_61
.LBB18_67:                              ;   in Loop: Header=BB18_4 Depth=1
	s_and_saveexec_b32 s7, s1
	s_cbranch_execz .LBB18_71
; %bb.68:                               ;   in Loop: Header=BB18_4 Depth=1
	v_dual_mov_b32 v15, 0 :: v_dual_mov_b32 v16, v40
	v_mov_b32_e32 v47, v39
	s_mov_b32 s42, -1
	s_mov_b32 s25, 0
.LBB18_69:                              ;   Parent Loop BB18_4 Depth=1
                                        ; =>  This Inner Loop Header: Depth=2
	ds_load_b32 v48, v16
	ds_load_b32 v49, v47
	s_wait_alu 0xfffe
	s_add_co_i32 s42, s42, 1
	v_add_nc_u32_e32 v47, 4, v47
	s_wait_alu 0xfffe
	v_cmp_ge_u32_e32 vcc_lo, s42, v21
	v_add_nc_u32_e32 v16, s24, v16
	s_or_b32 s25, vcc_lo, s25
	s_wait_dscnt 0x0
	v_fma_f32 v15, -v48, v49, v15
	s_wait_alu 0xfffe
	s_and_not1_b32 exec_lo, exec_lo, s25
	s_cbranch_execnz .LBB18_69
; %bb.70:                               ;   in Loop: Header=BB18_4 Depth=1
	s_or_b32 exec_lo, exec_lo, s25
	v_add_co_u32 v16, vcc_lo, v13, v7
	s_wait_alu 0xfffd
	v_add_co_ci_u32_e64 v48, null, v14, v8, vcc_lo
	s_delay_alu instid0(VALU_DEP_2) | instskip(SKIP_1) | instid1(VALU_DEP_2)
	v_add_co_u32 v47, vcc_lo, v16, v46
	s_wait_alu 0xfffd
	v_add_co_ci_u32_e64 v48, null, 0, v48, vcc_lo
	flat_store_b32 v[47:48], v15
.LBB18_71:                              ;   in Loop: Header=BB18_4 Depth=1
	s_wait_alu 0xfffe
	s_or_b32 exec_lo, exec_lo, s7
	s_and_saveexec_b32 s25, s2
	s_cbranch_execz .LBB18_2
.LBB18_72:                              ;   in Loop: Header=BB18_4 Depth=1
	s_and_b32 vcc_lo, exec_lo, s45
	s_mov_b32 s7, -1
	s_wait_alu 0xfffe
	s_cbranch_vccz .LBB18_77
; %bb.73:                               ;   in Loop: Header=BB18_4 Depth=1
	s_and_saveexec_b32 s42, s4
	s_cbranch_execz .LBB18_76
; %bb.74:                               ;   in Loop: Header=BB18_4 Depth=1
	v_add_co_u32 v11, vcc_lo, v11, v41
	s_wait_alu 0xfffd
	v_add_co_ci_u32_e64 v12, null, v12, v42, vcc_lo
	v_mov_b32_e32 v15, v27
	s_mov_b32 s43, 0
	s_mov_b32 s49, s22
.LBB18_75:                              ;   Parent Loop BB18_4 Depth=1
                                        ; =>  This Inner Loop Header: Depth=2
	ds_load_b32 v16, v15
	s_wait_alu 0xfffe
	s_add_co_i32 s49, s49, -1
	v_add_nc_u32_e32 v15, s24, v15
	s_wait_alu 0xfffe
	v_cmp_le_i32_e32 vcc_lo, s49, v1
	s_or_b32 s43, vcc_lo, s43
	s_wait_dscnt 0x0
	flat_store_b32 v[11:12], v16
	v_add_co_u32 v11, s7, v11, s40
	s_wait_alu 0xf1ff
	v_add_co_ci_u32_e64 v12, null, s41, v12, s7
	s_wait_alu 0xfffe
	s_and_not1_b32 exec_lo, exec_lo, s43
	s_cbranch_execnz .LBB18_75
.LBB18_76:                              ;   in Loop: Header=BB18_4 Depth=1
	s_wait_alu 0xfffe
	s_or_b32 exec_lo, exec_lo, s42
	s_mov_b32 s7, 0
.LBB18_77:                              ;   in Loop: Header=BB18_4 Depth=1
	s_wait_alu 0xfffe
	s_and_not1_b32 vcc_lo, exec_lo, s7
	s_wait_alu 0xfffe
	s_cbranch_vccnz .LBB18_2
; %bb.78:                               ;   in Loop: Header=BB18_4 Depth=1
	s_and_b32 exec_lo, exec_lo, s5
	s_cbranch_execz .LBB18_2
; %bb.79:                               ;   in Loop: Header=BB18_4 Depth=1
	v_add_co_u32 v11, vcc_lo, v13, v3
	s_wait_alu 0xfffd
	v_add_co_ci_u32_e64 v12, null, v14, v4, vcc_lo
	v_dual_mov_b32 v13, v18 :: v_dual_mov_b32 v14, v43
	s_delay_alu instid0(VALU_DEP_3) | instskip(SKIP_1) | instid1(VALU_DEP_3)
	v_add_co_u32 v11, vcc_lo, v11, v9
	s_wait_alu 0xfffd
	v_add_co_ci_u32_e64 v12, null, v12, v10, vcc_lo
	s_mov_b32 s42, 0
.LBB18_80:                              ;   Parent Loop BB18_4 Depth=1
                                        ; =>  This Inner Loop Header: Depth=2
	ds_load_b32 v15, v13
	v_add_nc_u32_e32 v14, -1, v14
	v_add_nc_u32_e32 v13, s24, v13
	s_delay_alu instid0(VALU_DEP_2)
	v_cmp_eq_u32_e32 vcc_lo, 0, v14
	s_wait_alu 0xfffe
	s_or_b32 s42, vcc_lo, s42
	s_wait_dscnt 0x0
	flat_store_b32 v[11:12], v15
	v_add_co_u32 v11, s7, v11, s38
	s_wait_alu 0xf1ff
	v_add_co_ci_u32_e64 v12, null, s39, v12, s7
	s_wait_alu 0xfffe
	s_and_not1_b32 exec_lo, exec_lo, s42
	s_cbranch_execnz .LBB18_80
	s_branch .LBB18_2
.LBB18_81:
	s_endpgm
	.section	.rodata,"a",@progbits
	.p2align	6, 0x0
	.amdhsa_kernel _ZL29rocblas_trtri_diagonal_kernelILi16EfPKPKfPKPfEv13rocblas_fill_17rocblas_diagonal_iT1_lillT2_lilli
		.amdhsa_group_segment_fixed_size 4096
		.amdhsa_private_segment_fixed_size 0
		.amdhsa_kernarg_size 100
		.amdhsa_user_sgpr_count 2
		.amdhsa_user_sgpr_dispatch_ptr 0
		.amdhsa_user_sgpr_queue_ptr 0
		.amdhsa_user_sgpr_kernarg_segment_ptr 1
		.amdhsa_user_sgpr_dispatch_id 0
		.amdhsa_user_sgpr_private_segment_size 0
		.amdhsa_wavefront_size32 1
		.amdhsa_uses_dynamic_stack 0
		.amdhsa_enable_private_segment 0
		.amdhsa_system_sgpr_workgroup_id_x 1
		.amdhsa_system_sgpr_workgroup_id_y 0
		.amdhsa_system_sgpr_workgroup_id_z 1
		.amdhsa_system_sgpr_workgroup_info 0
		.amdhsa_system_vgpr_workitem_id 0
		.amdhsa_next_free_vgpr 51
		.amdhsa_next_free_sgpr 52
		.amdhsa_reserve_vcc 1
		.amdhsa_float_round_mode_32 0
		.amdhsa_float_round_mode_16_64 0
		.amdhsa_float_denorm_mode_32 3
		.amdhsa_float_denorm_mode_16_64 3
		.amdhsa_fp16_overflow 0
		.amdhsa_workgroup_processor_mode 1
		.amdhsa_memory_ordered 1
		.amdhsa_forward_progress 1
		.amdhsa_inst_pref_size 29
		.amdhsa_round_robin_scheduling 0
		.amdhsa_exception_fp_ieee_invalid_op 0
		.amdhsa_exception_fp_denorm_src 0
		.amdhsa_exception_fp_ieee_div_zero 0
		.amdhsa_exception_fp_ieee_overflow 0
		.amdhsa_exception_fp_ieee_underflow 0
		.amdhsa_exception_fp_ieee_inexact 0
		.amdhsa_exception_int_div_zero 0
	.end_amdhsa_kernel
	.section	.text._ZL29rocblas_trtri_diagonal_kernelILi16EfPKPKfPKPfEv13rocblas_fill_17rocblas_diagonal_iT1_lillT2_lilli,"axG",@progbits,_ZL29rocblas_trtri_diagonal_kernelILi16EfPKPKfPKPfEv13rocblas_fill_17rocblas_diagonal_iT1_lillT2_lilli,comdat
.Lfunc_end18:
	.size	_ZL29rocblas_trtri_diagonal_kernelILi16EfPKPKfPKPfEv13rocblas_fill_17rocblas_diagonal_iT1_lillT2_lilli, .Lfunc_end18-_ZL29rocblas_trtri_diagonal_kernelILi16EfPKPKfPKPfEv13rocblas_fill_17rocblas_diagonal_iT1_lillT2_lilli
                                        ; -- End function
	.set _ZL29rocblas_trtri_diagonal_kernelILi16EfPKPKfPKPfEv13rocblas_fill_17rocblas_diagonal_iT1_lillT2_lilli.num_vgpr, 51
	.set _ZL29rocblas_trtri_diagonal_kernelILi16EfPKPKfPKPfEv13rocblas_fill_17rocblas_diagonal_iT1_lillT2_lilli.num_agpr, 0
	.set _ZL29rocblas_trtri_diagonal_kernelILi16EfPKPKfPKPfEv13rocblas_fill_17rocblas_diagonal_iT1_lillT2_lilli.numbered_sgpr, 52
	.set _ZL29rocblas_trtri_diagonal_kernelILi16EfPKPKfPKPfEv13rocblas_fill_17rocblas_diagonal_iT1_lillT2_lilli.num_named_barrier, 0
	.set _ZL29rocblas_trtri_diagonal_kernelILi16EfPKPKfPKPfEv13rocblas_fill_17rocblas_diagonal_iT1_lillT2_lilli.private_seg_size, 0
	.set _ZL29rocblas_trtri_diagonal_kernelILi16EfPKPKfPKPfEv13rocblas_fill_17rocblas_diagonal_iT1_lillT2_lilli.uses_vcc, 1
	.set _ZL29rocblas_trtri_diagonal_kernelILi16EfPKPKfPKPfEv13rocblas_fill_17rocblas_diagonal_iT1_lillT2_lilli.uses_flat_scratch, 0
	.set _ZL29rocblas_trtri_diagonal_kernelILi16EfPKPKfPKPfEv13rocblas_fill_17rocblas_diagonal_iT1_lillT2_lilli.has_dyn_sized_stack, 0
	.set _ZL29rocblas_trtri_diagonal_kernelILi16EfPKPKfPKPfEv13rocblas_fill_17rocblas_diagonal_iT1_lillT2_lilli.has_recursion, 0
	.set _ZL29rocblas_trtri_diagonal_kernelILi16EfPKPKfPKPfEv13rocblas_fill_17rocblas_diagonal_iT1_lillT2_lilli.has_indirect_call, 0
	.section	.AMDGPU.csdata,"",@progbits
; Kernel info:
; codeLenInByte = 3636
; TotalNumSgprs: 54
; NumVgprs: 51
; ScratchSize: 0
; MemoryBound: 0
; FloatMode: 240
; IeeeMode: 1
; LDSByteSize: 4096 bytes/workgroup (compile time only)
; SGPRBlocks: 0
; VGPRBlocks: 6
; NumSGPRsForWavesPerEU: 54
; NumVGPRsForWavesPerEU: 51
; Occupancy: 16
; WaveLimiterHint : 1
; COMPUTE_PGM_RSRC2:SCRATCH_EN: 0
; COMPUTE_PGM_RSRC2:USER_SGPR: 2
; COMPUTE_PGM_RSRC2:TRAP_HANDLER: 0
; COMPUTE_PGM_RSRC2:TGID_X_EN: 1
; COMPUTE_PGM_RSRC2:TGID_Y_EN: 0
; COMPUTE_PGM_RSRC2:TGID_Z_EN: 1
; COMPUTE_PGM_RSRC2:TIDIG_COMP_CNT: 0
	.section	.text._ZL30rocblas_trtri_remainder_kernelILi16EfPKPKfPKPfEv13rocblas_fill_17rocblas_diagonal_iT1_lillT2_lilli,"axG",@progbits,_ZL30rocblas_trtri_remainder_kernelILi16EfPKPKfPKPfEv13rocblas_fill_17rocblas_diagonal_iT1_lillT2_lilli,comdat
	.globl	_ZL30rocblas_trtri_remainder_kernelILi16EfPKPKfPKPfEv13rocblas_fill_17rocblas_diagonal_iT1_lillT2_lilli ; -- Begin function _ZL30rocblas_trtri_remainder_kernelILi16EfPKPKfPKPfEv13rocblas_fill_17rocblas_diagonal_iT1_lillT2_lilli
	.p2align	8
	.type	_ZL30rocblas_trtri_remainder_kernelILi16EfPKPKfPKPfEv13rocblas_fill_17rocblas_diagonal_iT1_lillT2_lilli,@function
_ZL30rocblas_trtri_remainder_kernelILi16EfPKPKfPKPfEv13rocblas_fill_17rocblas_diagonal_iT1_lillT2_lilli: ; @_ZL30rocblas_trtri_remainder_kernelILi16EfPKPKfPKPfEv13rocblas_fill_17rocblas_diagonal_iT1_lillT2_lilli
; %bb.0:
	s_load_b32 s15, s[0:1], 0x60
	s_lshr_b32 s2, ttmp7, 16
	s_wait_kmcnt 0x0
	s_cmp_ge_u32 s2, s15
	s_cbranch_scc1 .LBB19_38
; %bb.1:
	s_clause 0x5
	s_load_b32 s22, s[0:1], 0x20
	s_load_b96 s[16:18], s[0:1], 0x40
	s_load_b128 s[4:7], s[0:1], 0x30
	s_load_b64 s[24:25], s[0:1], 0x58
	s_load_b96 s[12:14], s[0:1], 0x0
	s_load_b128 s[8:11], s[0:1], 0x10
	s_mov_b32 s3, 0
	s_mov_b32 s20, ttmp9
	s_mov_b32 s21, s3
	s_mov_b32 s27, s3
	v_dual_mov_b32 v7, 0 :: v_dual_lshlrev_b32 v8, 2, v0
	v_add_nc_u32_e32 v13, 1, v0
	v_lshlrev_b32_e32 v17, 2, v0
	s_wait_kmcnt 0x0
	s_ashr_i32 s23, s22, 31
	s_ashr_i32 s35, s18, 31
	s_mul_u64 s[4:5], s[4:5], s[20:21]
	s_mov_b32 s34, s18
	s_cmp_gt_i32 s14, 0
	s_mul_u64 s[20:21], s[24:25], s[20:21]
	s_cselect_b32 s28, -1, 0
	s_cmp_lg_u32 s12, 0x7a
	v_mul_lo_u32 v1, v0, s14
	s_cselect_b32 s29, -1, 0
	s_add_co_i32 s26, s14, -1
	s_cmp_lg_u32 s13, 0x84
	s_mul_u64 s[12:13], s[22:23], s[26:27]
	s_cselect_b32 s30, -1, 0
	s_lshl_b64 s[4:5], s[4:5], 2
	s_lshl_b64 s[12:13], s[12:13], 2
	;; [unrolled: 1-line block ×3, first 2 shown]
	s_add_nc_u64 s[12:13], s[4:5], s[12:13]
	s_lshl_b64 s[20:21], s[20:21], 2
	s_add_nc_u64 s[18:19], s[12:13], s[10:11]
	s_lshl_b64 s[12:13], s[22:23], 2
	s_mul_u64 s[22:23], s[34:35], s[26:27]
	s_lshl_b64 s[16:17], s[16:17], 2
	s_lshl_b64 s[22:23], s[22:23], 2
	v_sub_nc_u32_e32 v2, s26, v0
	s_add_nc_u64 s[22:23], s[20:21], s[22:23]
	v_add_co_u32 v11, s1, s18, v8
	s_add_nc_u64 s[22:23], s[22:23], s[16:17]
	s_lshl_b32 s31, s14, 2
	v_add_co_ci_u32_e64 v12, null, s19, 0, s1
	v_add_co_u32 v15, s1, s22, v8
	v_cmp_gt_u32_e64 s0, s14, v0
	v_add_lshl_u32 v9, v1, v0, 2
	v_lshlrev_b32_e32 v10, 2, v2
	v_add_nc_u32_e32 v14, s31, v8
	s_wait_alu 0xf1ff
	v_add_co_ci_u32_e64 v16, null, s23, 0, s1
	s_lshl_b64 s[22:23], s[34:35], 2
	s_sub_nc_u64 s[18:19], 0, s[12:13]
	s_add_co_i32 s33, s31, 4
	s_wait_alu 0xfffe
	s_sub_nc_u64 s[24:25], 0, s[22:23]
	s_branch .LBB19_4
.LBB19_2:                               ;   in Loop: Header=BB19_4 Depth=1
	s_wait_alu 0xfffe
	s_or_b32 exec_lo, exec_lo, s26
.LBB19_3:                               ;   in Loop: Header=BB19_4 Depth=1
	s_add_co_i32 s2, s2, 0x10000
	s_delay_alu instid0(SALU_CYCLE_1)
	s_cmp_lt_u32 s2, s15
	s_cbranch_scc0 .LBB19_38
.LBB19_4:                               ; =>This Loop Header: Depth=1
                                        ;     Child Loop BB19_8 Depth 2
                                        ;     Child Loop BB19_12 Depth 2
	;; [unrolled: 1-line block ×3, first 2 shown]
                                        ;       Child Loop BB19_26 Depth 3
                                        ;     Child Loop BB19_33 Depth 2
                                        ;     Child Loop BB19_37 Depth 2
	s_and_not1_b32 vcc_lo, exec_lo, s28
	s_wait_alu 0xfffe
	s_cbranch_vccnz .LBB19_3
; %bb.5:                                ;   in Loop: Header=BB19_4 Depth=1
	s_lshl_b64 s[26:27], s[2:3], 3
	s_wait_alu 0xfffe
	s_add_nc_u64 s[34:35], s[6:7], s[26:27]
	global_load_b64 v[1:2], v7, s[34:35]
	s_and_saveexec_b32 s34, s0
	s_cbranch_execz .LBB19_13
; %bb.6:                                ;   in Loop: Header=BB19_4 Depth=1
	s_add_nc_u64 s[26:27], s[8:9], s[26:27]
	s_and_not1_b32 vcc_lo, exec_lo, s29
	global_load_b64 v[3:4], v7, s[26:27]
	s_mov_b32 s1, -1
	s_wait_alu 0xfffe
	s_cbranch_vccnz .LBB19_10
; %bb.7:                                ;   in Loop: Header=BB19_4 Depth=1
	s_wait_loadcnt 0x0
	v_add_co_u32 v5, vcc_lo, v3, v11
	s_wait_alu 0xfffd
	v_add_co_ci_u32_e64 v6, null, v4, v12, vcc_lo
	v_mov_b32_e32 v18, v10
	s_mov_b32 s26, 0
	s_mov_b32 s27, s14
.LBB19_8:                               ;   Parent Loop BB19_4 Depth=1
                                        ; =>  This Inner Loop Header: Depth=2
	flat_load_b32 v19, v[5:6]
	s_wait_alu 0xfffe
	s_add_co_i32 s27, s27, -1
	v_add_co_u32 v5, vcc_lo, v5, s18
	s_wait_alu 0xfffe
	v_cmp_le_u32_e64 s1, s27, v0
	s_wait_alu 0xfffd
	v_add_co_ci_u32_e64 v6, null, s19, v6, vcc_lo
	s_or_b32 s26, s1, s26
	s_wait_loadcnt_dscnt 0x0
	ds_store_b32 v18, v19
	v_add_nc_u32_e32 v18, s31, v18
	s_wait_alu 0xfffe
	s_and_not1_b32 exec_lo, exec_lo, s26
	s_cbranch_execnz .LBB19_8
; %bb.9:                                ;   in Loop: Header=BB19_4 Depth=1
	s_or_b32 exec_lo, exec_lo, s26
	s_mov_b32 s1, 0
.LBB19_10:                              ;   in Loop: Header=BB19_4 Depth=1
	s_wait_alu 0xfffe
	s_and_b32 vcc_lo, exec_lo, s1
	s_wait_alu 0xfffe
	s_cbranch_vccz .LBB19_13
; %bb.11:                               ;   in Loop: Header=BB19_4 Depth=1
	s_wait_loadcnt 0x0
	v_add_co_u32 v3, vcc_lo, v3, s10
	s_wait_alu 0xfffd
	v_add_co_ci_u32_e64 v4, null, s11, v4, vcc_lo
	v_dual_mov_b32 v5, v8 :: v_dual_mov_b32 v6, v13
	s_delay_alu instid0(VALU_DEP_3) | instskip(SKIP_1) | instid1(VALU_DEP_3)
	v_add_co_u32 v3, vcc_lo, v3, s4
	s_wait_alu 0xfffd
	v_add_co_ci_u32_e64 v4, null, s5, v4, vcc_lo
	s_mov_b32 s26, 0
	v_add_co_u32 v3, vcc_lo, v3, v17
	s_wait_alu 0xfffd
	v_add_co_ci_u32_e64 v4, null, 0, v4, vcc_lo
.LBB19_12:                              ;   Parent Loop BB19_4 Depth=1
                                        ; =>  This Inner Loop Header: Depth=2
	flat_load_b32 v18, v[3:4]
	v_add_nc_u32_e32 v6, -1, v6
	v_add_co_u32 v3, vcc_lo, v3, s12
	s_wait_alu 0xfffd
	v_add_co_ci_u32_e64 v4, null, s13, v4, vcc_lo
	s_delay_alu instid0(VALU_DEP_3)
	v_cmp_eq_u32_e64 s1, 0, v6
	s_wait_alu 0xfffe
	s_or_b32 s26, s1, s26
	s_wait_loadcnt_dscnt 0x0
	ds_store_b32 v5, v18
	v_add_nc_u32_e32 v5, s31, v5
	s_wait_alu 0xfffe
	s_and_not1_b32 exec_lo, exec_lo, s26
	s_cbranch_execnz .LBB19_12
.LBB19_13:                              ;   in Loop: Header=BB19_4 Depth=1
	s_wait_alu 0xfffe
	s_or_b32 exec_lo, exec_lo, s34
	s_wait_loadcnt_dscnt 0x0
	s_barrier_signal -1
	s_barrier_wait -1
	global_inv scope:SCOPE_SE
	s_and_saveexec_b32 s1, s0
	s_cbranch_execz .LBB19_19
; %bb.14:                               ;   in Loop: Header=BB19_4 Depth=1
	v_mov_b32_e32 v4, 1.0
	s_and_not1_b32 vcc_lo, exec_lo, s30
	s_wait_alu 0xfffe
	s_cbranch_vccnz .LBB19_18
; %bb.15:                               ;   in Loop: Header=BB19_4 Depth=1
	ds_load_b32 v3, v9
	v_mov_b32_e32 v4, 1.0
	s_mov_b32 s26, exec_lo
	s_wait_dscnt 0x0
	v_cmpx_neq_f32_e32 0, v3
	s_cbranch_execz .LBB19_17
; %bb.16:                               ;   in Loop: Header=BB19_4 Depth=1
	v_div_scale_f32 v4, null, v3, v3, 1.0
	s_delay_alu instid0(VALU_DEP_1) | instskip(NEXT) | instid1(TRANS32_DEP_1)
	v_rcp_f32_e32 v5, v4
	v_fma_f32 v6, -v4, v5, 1.0
	s_delay_alu instid0(VALU_DEP_1) | instskip(SKIP_1) | instid1(VALU_DEP_1)
	v_fmac_f32_e32 v5, v6, v5
	v_div_scale_f32 v6, vcc_lo, 1.0, v3, 1.0
	v_mul_f32_e32 v18, v6, v5
	s_delay_alu instid0(VALU_DEP_1) | instskip(NEXT) | instid1(VALU_DEP_1)
	v_fma_f32 v19, -v4, v18, v6
	v_fmac_f32_e32 v18, v19, v5
	s_delay_alu instid0(VALU_DEP_1) | instskip(SKIP_1) | instid1(VALU_DEP_1)
	v_fma_f32 v4, -v4, v18, v6
	s_wait_alu 0xfffd
	v_div_fmas_f32 v4, v4, v5, v18
	s_delay_alu instid0(VALU_DEP_1)
	v_div_fixup_f32 v4, v4, v3, 1.0
.LBB19_17:                              ;   in Loop: Header=BB19_4 Depth=1
	s_wait_alu 0xfffe
	s_or_b32 exec_lo, exec_lo, s26
.LBB19_18:                              ;   in Loop: Header=BB19_4 Depth=1
	ds_store_b32 v9, v4
.LBB19_19:                              ;   in Loop: Header=BB19_4 Depth=1
	s_wait_alu 0xfffe
	s_or_b32 exec_lo, exec_lo, s1
	v_mov_b32_e32 v3, v14
	s_mov_b32 s1, 0
	s_mov_b32 s26, 4
	s_wait_loadcnt_dscnt 0x0
	s_barrier_signal -1
	s_barrier_wait -1
	global_inv scope:SCOPE_SE
	s_branch .LBB19_21
.LBB19_20:                              ;   in Loop: Header=BB19_21 Depth=2
	v_add_nc_u32_e32 v3, s31, v3
	s_add_co_i32 s26, s26, s33
	s_cmp_eq_u32 s1, s14
	s_wait_loadcnt 0x0
	s_barrier_signal -1
	s_barrier_wait -1
	global_inv scope:SCOPE_SE
	s_cbranch_scc1 .LBB19_30
.LBB19_21:                              ;   Parent Loop BB19_4 Depth=1
                                        ; =>  This Loop Header: Depth=2
                                        ;       Child Loop BB19_26 Depth 3
	v_mov_b32_e32 v4, 0
	s_wait_alu 0xfffe
	s_mul_i32 s27, s1, s14
	s_mov_b32 s34, exec_lo
	v_cmpx_lt_u32_e64 s1, v0
	s_cbranch_execz .LBB19_23
; %bb.22:                               ;   in Loop: Header=BB19_21 Depth=2
	s_lshl_b32 s35, s1, 2
	s_wait_alu 0xfffe
	s_lshl_b32 s36, s27, 2
	s_wait_alu 0xfffe
	s_add_co_i32 s35, s35, s36
	s_wait_alu 0xfffe
	v_dual_mov_b32 v5, s35 :: v_dual_add_nc_u32 v4, s36, v8
	ds_load_b32 v4, v4
	ds_load_b32 v5, v5
	s_wait_dscnt 0x0
	v_fma_f32 v4, v4, v5, 0
.LBB19_23:                              ;   in Loop: Header=BB19_21 Depth=2
	s_wait_alu 0xfffe
	s_or_b32 exec_lo, exec_lo, s34
	s_add_co_i32 s1, s1, 1
	s_wait_loadcnt 0x0
	s_wait_alu 0xfffe
	s_cmp_ge_i32 s1, s14
	s_barrier_signal -1
	s_barrier_wait -1
	global_inv scope:SCOPE_SE
	s_cbranch_scc1 .LBB19_20
; %bb.24:                               ;   in Loop: Header=BB19_21 Depth=2
	v_lshl_add_u32 v5, s27, 2, v8
	v_mov_b32_e32 v6, v3
	s_mov_b32 s27, s26
	s_mov_b32 s34, s1
	s_branch .LBB19_26
.LBB19_25:                              ;   in Loop: Header=BB19_26 Depth=3
	s_wait_alu 0xfffe
	s_or_b32 exec_lo, exec_lo, s35
	v_add_nc_u32_e32 v6, s31, v6
	s_add_co_i32 s34, s34, 1
	s_add_co_i32 s27, s27, 4
	s_wait_alu 0xfffe
	s_cmp_eq_u32 s14, s34
	s_wait_loadcnt 0x0
	s_barrier_signal -1
	s_barrier_wait -1
	global_inv scope:SCOPE_SE
	s_cbranch_scc1 .LBB19_20
.LBB19_26:                              ;   Parent Loop BB19_4 Depth=1
                                        ;     Parent Loop BB19_21 Depth=2
                                        ; =>    This Inner Loop Header: Depth=3
	s_mov_b32 s35, exec_lo
	s_wait_alu 0xfffe
	v_cmpx_eq_u32_e64 s34, v0
	s_cbranch_execz .LBB19_28
; %bb.27:                               ;   in Loop: Header=BB19_26 Depth=3
	ds_load_b32 v18, v9
	s_wait_dscnt 0x0
	v_mul_f32_e64 v18, -v4, v18
	ds_store_b32 v5, v18
.LBB19_28:                              ;   in Loop: Header=BB19_26 Depth=3
	s_or_b32 exec_lo, exec_lo, s35
	s_delay_alu instid0(SALU_CYCLE_1)
	s_mov_b32 s35, exec_lo
	s_wait_loadcnt_dscnt 0x0
	s_barrier_signal -1
	s_barrier_wait -1
	global_inv scope:SCOPE_SE
	v_cmpx_lt_u32_e64 s34, v0
	s_cbranch_execz .LBB19_25
; %bb.29:                               ;   in Loop: Header=BB19_26 Depth=3
	v_mov_b32_e32 v18, s27
	ds_load_b32 v19, v6
	ds_load_b32 v18, v18
	s_wait_dscnt 0x0
	v_fmac_f32_e32 v4, v19, v18
	s_branch .LBB19_25
.LBB19_30:                              ;   in Loop: Header=BB19_4 Depth=1
	s_and_saveexec_b32 s26, s0
	s_cbranch_execz .LBB19_2
; %bb.31:                               ;   in Loop: Header=BB19_4 Depth=1
	s_and_not1_b32 vcc_lo, exec_lo, s29
	s_mov_b32 s1, -1
	s_wait_alu 0xfffe
	s_cbranch_vccnz .LBB19_35
; %bb.32:                               ;   in Loop: Header=BB19_4 Depth=1
	v_add_co_u32 v3, vcc_lo, v1, v15
	s_wait_alu 0xfffd
	v_add_co_ci_u32_e64 v4, null, v2, v16, vcc_lo
	v_mov_b32_e32 v5, v10
	s_mov_b32 s27, 0
	s_mov_b32 s34, s14
.LBB19_33:                              ;   Parent Loop BB19_4 Depth=1
                                        ; =>  This Inner Loop Header: Depth=2
	ds_load_b32 v6, v5
	s_wait_alu 0xfffe
	s_add_co_i32 s34, s34, -1
	v_add_nc_u32_e32 v5, s31, v5
	s_wait_alu 0xfffe
	v_cmp_le_u32_e32 vcc_lo, s34, v0
	s_or_b32 s27, vcc_lo, s27
	s_wait_dscnt 0x0
	flat_store_b32 v[3:4], v6
	v_add_co_u32 v3, s1, v3, s24
	s_wait_alu 0xf1ff
	v_add_co_ci_u32_e64 v4, null, s25, v4, s1
	s_wait_alu 0xfffe
	s_and_not1_b32 exec_lo, exec_lo, s27
	s_cbranch_execnz .LBB19_33
; %bb.34:                               ;   in Loop: Header=BB19_4 Depth=1
	s_or_b32 exec_lo, exec_lo, s27
	s_mov_b32 s1, 0
.LBB19_35:                              ;   in Loop: Header=BB19_4 Depth=1
	s_wait_alu 0xfffe
	s_and_b32 vcc_lo, exec_lo, s1
	s_wait_alu 0xfffe
	s_cbranch_vccz .LBB19_2
; %bb.36:                               ;   in Loop: Header=BB19_4 Depth=1
	v_add_co_u32 v1, vcc_lo, v1, s16
	s_wait_alu 0xfffd
	v_add_co_ci_u32_e64 v2, null, s17, v2, vcc_lo
	v_dual_mov_b32 v3, v8 :: v_dual_mov_b32 v4, v13
	s_delay_alu instid0(VALU_DEP_3) | instskip(SKIP_1) | instid1(VALU_DEP_3)
	v_add_co_u32 v1, vcc_lo, v1, s20
	s_wait_alu 0xfffd
	v_add_co_ci_u32_e64 v2, null, s21, v2, vcc_lo
	s_mov_b32 s27, 0
	v_add_co_u32 v1, vcc_lo, v1, v17
	s_wait_alu 0xfffd
	v_add_co_ci_u32_e64 v2, null, 0, v2, vcc_lo
.LBB19_37:                              ;   Parent Loop BB19_4 Depth=1
                                        ; =>  This Inner Loop Header: Depth=2
	ds_load_b32 v5, v3
	v_add_nc_u32_e32 v4, -1, v4
	v_add_nc_u32_e32 v3, s31, v3
	s_delay_alu instid0(VALU_DEP_2)
	v_cmp_eq_u32_e32 vcc_lo, 0, v4
	s_wait_alu 0xfffe
	s_or_b32 s27, vcc_lo, s27
	s_wait_dscnt 0x0
	flat_store_b32 v[1:2], v5
	v_add_co_u32 v1, s1, v1, s22
	s_wait_alu 0xf1ff
	v_add_co_ci_u32_e64 v2, null, s23, v2, s1
	s_wait_alu 0xfffe
	s_and_not1_b32 exec_lo, exec_lo, s27
	s_cbranch_execnz .LBB19_37
	s_branch .LBB19_2
.LBB19_38:
	s_endpgm
	.section	.rodata,"a",@progbits
	.p2align	6, 0x0
	.amdhsa_kernel _ZL30rocblas_trtri_remainder_kernelILi16EfPKPKfPKPfEv13rocblas_fill_17rocblas_diagonal_iT1_lillT2_lilli
		.amdhsa_group_segment_fixed_size 4096
		.amdhsa_private_segment_fixed_size 0
		.amdhsa_kernarg_size 100
		.amdhsa_user_sgpr_count 2
		.amdhsa_user_sgpr_dispatch_ptr 0
		.amdhsa_user_sgpr_queue_ptr 0
		.amdhsa_user_sgpr_kernarg_segment_ptr 1
		.amdhsa_user_sgpr_dispatch_id 0
		.amdhsa_user_sgpr_private_segment_size 0
		.amdhsa_wavefront_size32 1
		.amdhsa_uses_dynamic_stack 0
		.amdhsa_enable_private_segment 0
		.amdhsa_system_sgpr_workgroup_id_x 1
		.amdhsa_system_sgpr_workgroup_id_y 0
		.amdhsa_system_sgpr_workgroup_id_z 1
		.amdhsa_system_sgpr_workgroup_info 0
		.amdhsa_system_vgpr_workitem_id 0
		.amdhsa_next_free_vgpr 20
		.amdhsa_next_free_sgpr 37
		.amdhsa_reserve_vcc 1
		.amdhsa_float_round_mode_32 0
		.amdhsa_float_round_mode_16_64 0
		.amdhsa_float_denorm_mode_32 3
		.amdhsa_float_denorm_mode_16_64 3
		.amdhsa_fp16_overflow 0
		.amdhsa_workgroup_processor_mode 1
		.amdhsa_memory_ordered 1
		.amdhsa_forward_progress 1
		.amdhsa_inst_pref_size 14
		.amdhsa_round_robin_scheduling 0
		.amdhsa_exception_fp_ieee_invalid_op 0
		.amdhsa_exception_fp_denorm_src 0
		.amdhsa_exception_fp_ieee_div_zero 0
		.amdhsa_exception_fp_ieee_overflow 0
		.amdhsa_exception_fp_ieee_underflow 0
		.amdhsa_exception_fp_ieee_inexact 0
		.amdhsa_exception_int_div_zero 0
	.end_amdhsa_kernel
	.section	.text._ZL30rocblas_trtri_remainder_kernelILi16EfPKPKfPKPfEv13rocblas_fill_17rocblas_diagonal_iT1_lillT2_lilli,"axG",@progbits,_ZL30rocblas_trtri_remainder_kernelILi16EfPKPKfPKPfEv13rocblas_fill_17rocblas_diagonal_iT1_lillT2_lilli,comdat
.Lfunc_end19:
	.size	_ZL30rocblas_trtri_remainder_kernelILi16EfPKPKfPKPfEv13rocblas_fill_17rocblas_diagonal_iT1_lillT2_lilli, .Lfunc_end19-_ZL30rocblas_trtri_remainder_kernelILi16EfPKPKfPKPfEv13rocblas_fill_17rocblas_diagonal_iT1_lillT2_lilli
                                        ; -- End function
	.set _ZL30rocblas_trtri_remainder_kernelILi16EfPKPKfPKPfEv13rocblas_fill_17rocblas_diagonal_iT1_lillT2_lilli.num_vgpr, 20
	.set _ZL30rocblas_trtri_remainder_kernelILi16EfPKPKfPKPfEv13rocblas_fill_17rocblas_diagonal_iT1_lillT2_lilli.num_agpr, 0
	.set _ZL30rocblas_trtri_remainder_kernelILi16EfPKPKfPKPfEv13rocblas_fill_17rocblas_diagonal_iT1_lillT2_lilli.numbered_sgpr, 37
	.set _ZL30rocblas_trtri_remainder_kernelILi16EfPKPKfPKPfEv13rocblas_fill_17rocblas_diagonal_iT1_lillT2_lilli.num_named_barrier, 0
	.set _ZL30rocblas_trtri_remainder_kernelILi16EfPKPKfPKPfEv13rocblas_fill_17rocblas_diagonal_iT1_lillT2_lilli.private_seg_size, 0
	.set _ZL30rocblas_trtri_remainder_kernelILi16EfPKPKfPKPfEv13rocblas_fill_17rocblas_diagonal_iT1_lillT2_lilli.uses_vcc, 1
	.set _ZL30rocblas_trtri_remainder_kernelILi16EfPKPKfPKPfEv13rocblas_fill_17rocblas_diagonal_iT1_lillT2_lilli.uses_flat_scratch, 0
	.set _ZL30rocblas_trtri_remainder_kernelILi16EfPKPKfPKPfEv13rocblas_fill_17rocblas_diagonal_iT1_lillT2_lilli.has_dyn_sized_stack, 0
	.set _ZL30rocblas_trtri_remainder_kernelILi16EfPKPKfPKPfEv13rocblas_fill_17rocblas_diagonal_iT1_lillT2_lilli.has_recursion, 0
	.set _ZL30rocblas_trtri_remainder_kernelILi16EfPKPKfPKPfEv13rocblas_fill_17rocblas_diagonal_iT1_lillT2_lilli.has_indirect_call, 0
	.section	.AMDGPU.csdata,"",@progbits
; Kernel info:
; codeLenInByte = 1684
; TotalNumSgprs: 39
; NumVgprs: 20
; ScratchSize: 0
; MemoryBound: 0
; FloatMode: 240
; IeeeMode: 1
; LDSByteSize: 4096 bytes/workgroup (compile time only)
; SGPRBlocks: 0
; VGPRBlocks: 2
; NumSGPRsForWavesPerEU: 39
; NumVGPRsForWavesPerEU: 20
; Occupancy: 16
; WaveLimiterHint : 0
; COMPUTE_PGM_RSRC2:SCRATCH_EN: 0
; COMPUTE_PGM_RSRC2:USER_SGPR: 2
; COMPUTE_PGM_RSRC2:TRAP_HANDLER: 0
; COMPUTE_PGM_RSRC2:TGID_X_EN: 1
; COMPUTE_PGM_RSRC2:TGID_Y_EN: 0
; COMPUTE_PGM_RSRC2:TGID_Z_EN: 1
; COMPUTE_PGM_RSRC2:TIDIG_COMP_CNT: 0
	.section	.text._ZL18rocblas_trtri_fillILi128EdPKPdEvP15_rocblas_handle13rocblas_fill_ililT1_llii,"axG",@progbits,_ZL18rocblas_trtri_fillILi128EdPKPdEvP15_rocblas_handle13rocblas_fill_ililT1_llii,comdat
	.globl	_ZL18rocblas_trtri_fillILi128EdPKPdEvP15_rocblas_handle13rocblas_fill_ililT1_llii ; -- Begin function _ZL18rocblas_trtri_fillILi128EdPKPdEvP15_rocblas_handle13rocblas_fill_ililT1_llii
	.p2align	8
	.type	_ZL18rocblas_trtri_fillILi128EdPKPdEvP15_rocblas_handle13rocblas_fill_ililT1_llii,@function
_ZL18rocblas_trtri_fillILi128EdPKPdEvP15_rocblas_handle13rocblas_fill_ililT1_llii: ; @_ZL18rocblas_trtri_fillILi128EdPKPdEvP15_rocblas_handle13rocblas_fill_ililT1_llii
; %bb.0:
	s_load_b64 s[2:3], s[0:1], 0x40
	s_lshr_b32 s12, ttmp7, 16
	s_wait_kmcnt 0x0
	s_cmp_ge_u32 s12, s3
	s_cbranch_scc1 .LBB20_17
; %bb.1:
	s_clause 0x1
	s_load_b128 s[4:7], s[0:1], 0x8
	s_load_b32 s16, s[0:1], 0x18
	s_mov_b32 s14, ttmp9
	s_ashr_i32 s21, s2, 31
	s_mov_b32 s20, s2
	s_clause 0x1
	s_load_b128 s[8:11], s[0:1], 0x20
	s_load_b64 s[30:31], s[0:1], 0x30
	s_add_nc_u64 s[26:27], s[0:1], 0x48
	s_wait_kmcnt 0x0
	v_cvt_f32_u32_e32 v1, s6
	s_add_co_i32 s13, s5, -2
	s_cvt_f32_u32 s15, s7
	s_ashr_i32 s19, s5, 31
	s_add_co_i32 s24, s5, -1
	v_rcp_iflag_f32_e32 v3, v1
	v_cvt_f64_i32_e32 v[1:2], s13
	s_cvt_f32_u32 s13, s6
	s_mov_b32 s18, s5
	s_sub_co_i32 s5, 0, s6
	s_ashr_i32 s25, s24, 31
	s_wait_alu 0xfffe
	s_fmamk_f32 s2, s15, 0x4f800000, s13
	s_mov_b32 s15, 0
	s_mul_u64 s[20:21], s[6:7], s[20:21]
	s_lshl_b64 s[22:23], s[14:15], 7
	s_delay_alu instid0(SALU_CYCLE_1) | instskip(SKIP_3) | instid1(VALU_DEP_1)
	v_dual_mul_f32 v3, 0x4f7ffffe, v3 :: v_dual_mov_b32 v4, s23
	v_s_rcp_f32 s2, s2
	s_mul_u64 s[24:25], s[24:25], s[18:19]
	s_ashr_i32 s17, s16, 31
	v_cvt_u32_f32_e32 v6, v3
	v_or_b32_e32 v3, s22, v0
	s_lshl_b64 s[22:23], s[24:25], 2
	s_lshr_b64 s[24:25], s[24:25], 1
	s_mul_f32 s13, s2, 0x5f7ffffc
	v_mul_lo_u32 v5, s5, v6
	s_wait_alu 0xfffe
	s_add_nc_u64 s[22:23], s[22:23], -7
	s_lshl_b64 s[30:31], s[30:31], 3
	s_mul_f32 s2, s13, 0x2f800000
	s_sub_nc_u64 s[34:35], 0, s[6:7]
	s_wait_alu 0xfffe
	s_delay_alu instid0(SALU_CYCLE_1)
	s_trunc_f32 s5, s2
	v_mul_hi_u32 v0, v6, v5
	v_cmp_gt_u64_e64 s2, s[20:21], v[3:4]
	v_mov_b32_e32 v5, 0
	s_wait_alu 0xfffe
	s_fmamk_f32 s13, s5, 0xcf800000, s13
	s_cvt_u32_f32 s29, s5
	s_wait_alu 0xfffe
	s_delay_alu instid0(SALU_CYCLE_1)
	s_cvt_u32_f32 s28, s13
	v_add_nc_u32_e32 v0, v6, v0
	s_branch .LBB20_3
.LBB20_2:                               ;   in Loop: Header=BB20_3 Depth=1
	s_wait_alu 0xfffe
	s_or_b32 exec_lo, exec_lo, s1
	s_add_co_i32 s12, s12, 0x10000
	s_wait_alu 0xfffe
	s_cmp_lt_u32 s12, s3
	s_cbranch_scc0 .LBB20_17
.LBB20_3:                               ; =>This Loop Header: Depth=1
                                        ;     Child Loop BB20_6 Depth 2
	s_and_saveexec_b32 s1, s2
	s_cbranch_execz .LBB20_2
; %bb.4:                                ;   in Loop: Header=BB20_3 Depth=1
	s_mov_b32 s13, s15
	s_clause 0x1
	s_load_b32 s0, s[26:27], 0xc
	s_load_b32 s14, s[26:27], 0x0
	s_lshl_b64 s[36:37], s[12:13], 3
	v_dual_mov_b32 v8, v4 :: v_dual_mov_b32 v7, v3
	s_wait_alu 0xfffe
	s_add_nc_u64 s[36:37], s[10:11], s[36:37]
	s_mov_b32 s5, 0
	s_load_b64 s[38:39], s[36:37], 0x0
	s_mov_b32 s37, s15
	s_wait_kmcnt 0x0
	s_and_b32 s36, s0, 0xffff
	s_wait_alu 0xfffe
	s_mul_u64 s[36:37], s[36:37], s[14:15]
	s_add_nc_u64 s[38:39], s[38:39], s[30:31]
	s_branch .LBB20_6
.LBB20_5:                               ;   in Loop: Header=BB20_6 Depth=2
	v_add_co_u32 v7, vcc_lo, v7, s36
	s_wait_alu 0xfffd
	v_add_co_ci_u32_e64 v8, null, s37, v8, vcc_lo
	s_delay_alu instid0(VALU_DEP_1)
	v_cmp_le_u64_e32 vcc_lo, s[20:21], v[7:8]
	s_or_b32 s5, vcc_lo, s5
	s_wait_alu 0xfffe
	s_and_not1_b32 exec_lo, exec_lo, s5
	s_cbranch_execz .LBB20_2
.LBB20_6:                               ;   Parent Loop BB20_3 Depth=1
                                        ; =>  This Inner Loop Header: Depth=2
	v_or_b32_e32 v6, s7, v8
                                        ; implicit-def: $vgpr9_vgpr10
	s_mov_b32 s0, exec_lo
	s_delay_alu instid0(VALU_DEP_1)
	v_cmpx_ne_u64_e32 0, v[5:6]
	s_wait_alu 0xfffe
	s_xor_b32 s13, exec_lo, s0
	s_cbranch_execz .LBB20_8
; %bb.7:                                ;   in Loop: Header=BB20_6 Depth=2
	s_mul_u64 s[40:41], s[34:35], s[28:29]
	s_delay_alu instid0(SALU_CYCLE_1)
	s_mul_hi_u32 s43, s28, s41
	s_mul_i32 s42, s28, s41
	s_mul_hi_u32 s14, s28, s40
	s_mul_hi_u32 s0, s29, s40
	s_wait_alu 0xfffe
	s_add_nc_u64 s[42:43], s[14:15], s[42:43]
	s_mul_i32 s14, s29, s40
	s_mul_hi_u32 s33, s29, s41
	s_wait_alu 0xfffe
	s_add_co_u32 s14, s42, s14
	s_add_co_ci_u32 s14, s43, s0
	s_add_co_ci_u32 s43, s33, 0
	s_mul_i32 s42, s29, s41
	s_wait_alu 0xfffe
	s_add_nc_u64 s[40:41], s[14:15], s[42:43]
	s_delay_alu instid0(SALU_CYCLE_1) | instskip(SKIP_4) | instid1(SALU_CYCLE_1)
	s_add_co_u32 s40, s28, s40
	s_cselect_b32 s0, -1, 0
	s_wait_alu 0xfffe
	s_cmp_lg_u32 s0, 0
	s_add_co_ci_u32 s41, s29, s41
	s_mul_u64 s[42:43], s[34:35], s[40:41]
	s_delay_alu instid0(SALU_CYCLE_1)
	s_mul_hi_u32 s45, s40, s43
	s_mul_i32 s44, s40, s43
	s_mul_hi_u32 s14, s40, s42
	s_mul_i32 s33, s41, s42
	s_wait_alu 0xfffe
	s_add_nc_u64 s[44:45], s[14:15], s[44:45]
	s_mul_hi_u32 s0, s41, s42
	s_mul_hi_u32 s46, s41, s43
	s_add_co_u32 s14, s44, s33
	s_wait_alu 0xfffe
	s_add_co_ci_u32 s14, s45, s0
	s_mul_i32 s42, s41, s43
	s_add_co_ci_u32 s43, s46, 0
	s_wait_alu 0xfffe
	s_add_nc_u64 s[42:43], s[14:15], s[42:43]
	s_delay_alu instid0(SALU_CYCLE_1)
	s_add_co_u32 s0, s40, s42
	s_cselect_b32 s14, -1, 0
	s_wait_alu 0xfffe
	v_mul_hi_u32 v6, v7, s0
	s_cmp_lg_u32 s14, 0
	v_mad_co_u64_u32 v[11:12], null, v8, s0, 0
	s_add_co_ci_u32 s14, s41, s43
	s_wait_alu 0xfffe
	v_mad_co_u64_u32 v[9:10], null, v7, s14, 0
	v_mad_co_u64_u32 v[13:14], null, v8, s14, 0
	s_delay_alu instid0(VALU_DEP_2) | instskip(SKIP_1) | instid1(VALU_DEP_3)
	v_add_co_u32 v6, vcc_lo, v6, v9
	s_wait_alu 0xfffd
	v_add_co_ci_u32_e64 v9, null, 0, v10, vcc_lo
	s_delay_alu instid0(VALU_DEP_2) | instskip(SKIP_1) | instid1(VALU_DEP_2)
	v_add_co_u32 v6, vcc_lo, v6, v11
	s_wait_alu 0xfffd
	v_add_co_ci_u32_e32 v6, vcc_lo, v9, v12, vcc_lo
	s_wait_alu 0xfffd
	v_add_co_ci_u32_e32 v9, vcc_lo, 0, v14, vcc_lo
	s_delay_alu instid0(VALU_DEP_2) | instskip(SKIP_1) | instid1(VALU_DEP_2)
	v_add_co_u32 v6, vcc_lo, v6, v13
	s_wait_alu 0xfffd
	v_add_co_ci_u32_e64 v11, null, 0, v9, vcc_lo
	s_delay_alu instid0(VALU_DEP_2) | instskip(SKIP_1) | instid1(VALU_DEP_3)
	v_mul_lo_u32 v12, s7, v6
	v_mad_co_u64_u32 v[9:10], null, s6, v6, 0
	v_mul_lo_u32 v13, s6, v11
	s_delay_alu instid0(VALU_DEP_2) | instskip(NEXT) | instid1(VALU_DEP_2)
	v_sub_co_u32 v9, vcc_lo, v7, v9
	v_add3_u32 v10, v10, v13, v12
	v_add_co_u32 v13, s0, v6, 2
	s_wait_alu 0xf1ff
	v_add_co_ci_u32_e64 v14, null, 0, v11, s0
	s_delay_alu instid0(VALU_DEP_3) | instskip(SKIP_3) | instid1(VALU_DEP_3)
	v_sub_nc_u32_e32 v12, v8, v10
	v_sub_co_u32 v15, s0, v9, s6
	s_wait_alu 0xfffd
	v_sub_co_ci_u32_e64 v10, null, v8, v10, vcc_lo
	v_subrev_co_ci_u32_e64 v12, null, s7, v12, vcc_lo
	s_delay_alu instid0(VALU_DEP_3) | instskip(SKIP_1) | instid1(VALU_DEP_2)
	v_cmp_le_u32_e32 vcc_lo, s6, v15
	s_wait_alu 0xf1ff
	v_subrev_co_ci_u32_e64 v12, null, 0, v12, s0
	s_wait_alu 0xfffd
	v_cndmask_b32_e64 v15, 0, -1, vcc_lo
	v_cmp_eq_u32_e64 s0, s7, v10
	s_delay_alu instid0(VALU_DEP_3)
	v_cmp_le_u32_e32 vcc_lo, s7, v12
	s_wait_alu 0xfffd
	v_cndmask_b32_e64 v16, 0, -1, vcc_lo
	v_cmp_le_u32_e32 vcc_lo, s6, v9
	s_wait_alu 0xfffd
	v_cndmask_b32_e64 v9, 0, -1, vcc_lo
	;; [unrolled: 3-line block ×3, first 2 shown]
	v_cmp_eq_u32_e32 vcc_lo, s7, v12
	s_wait_alu 0xf1ff
	s_delay_alu instid0(VALU_DEP_2)
	v_cndmask_b32_e64 v9, v17, v9, s0
	s_wait_alu 0xfffd
	v_cndmask_b32_e32 v12, v16, v15, vcc_lo
	v_add_co_u32 v15, vcc_lo, v6, 1
	s_wait_alu 0xfffd
	v_add_co_ci_u32_e64 v16, null, 0, v11, vcc_lo
	s_delay_alu instid0(VALU_DEP_3) | instskip(SKIP_2) | instid1(VALU_DEP_3)
	v_cmp_ne_u32_e32 vcc_lo, 0, v12
	s_wait_alu 0xfffd
	v_cndmask_b32_e32 v12, v15, v13, vcc_lo
	v_cndmask_b32_e32 v10, v16, v14, vcc_lo
	v_cmp_ne_u32_e32 vcc_lo, 0, v9
	s_wait_alu 0xfffd
	s_delay_alu instid0(VALU_DEP_2)
	v_dual_cndmask_b32 v9, v6, v12 :: v_dual_cndmask_b32 v10, v11, v10
.LBB20_8:                               ;   in Loop: Header=BB20_6 Depth=2
	s_wait_alu 0xfffe
	s_and_not1_saveexec_b32 s0, s13
	s_cbranch_execz .LBB20_10
; %bb.9:                                ;   in Loop: Header=BB20_6 Depth=2
	v_mul_hi_u32 v6, v7, v0
	s_delay_alu instid0(VALU_DEP_1) | instskip(NEXT) | instid1(VALU_DEP_1)
	v_mul_lo_u32 v9, v6, s6
	v_sub_nc_u32_e32 v9, v7, v9
	s_delay_alu instid0(VALU_DEP_1) | instskip(SKIP_2) | instid1(VALU_DEP_2)
	v_subrev_nc_u32_e32 v11, s6, v9
	v_cmp_le_u32_e32 vcc_lo, s6, v9
	s_wait_alu 0xfffd
	v_dual_cndmask_b32 v9, v9, v11 :: v_dual_add_nc_u32 v10, 1, v6
	s_delay_alu instid0(VALU_DEP_1) | instskip(NEXT) | instid1(VALU_DEP_2)
	v_cndmask_b32_e32 v6, v6, v10, vcc_lo
	v_cmp_le_u32_e32 vcc_lo, s6, v9
	s_delay_alu instid0(VALU_DEP_2) | instskip(SKIP_1) | instid1(VALU_DEP_1)
	v_add_nc_u32_e32 v10, 1, v6
	s_wait_alu 0xfffd
	v_dual_cndmask_b32 v9, v6, v10 :: v_dual_mov_b32 v10, v5
.LBB20_10:                              ;   in Loop: Header=BB20_6 Depth=2
	s_wait_alu 0xfffe
	s_or_b32 exec_lo, exec_lo, s0
	s_delay_alu instid0(VALU_DEP_1) | instskip(NEXT) | instid1(VALU_DEP_2)
	v_mul_lo_u32 v6, v10, s6
	v_mul_lo_u32 v13, v9, s7
	v_mad_co_u64_u32 v[11:12], null, v9, s6, 0
	s_cmp_lt_i32 s4, 0x7a
	s_mov_b32 s0, -1
	v_add3_u32 v6, v12, v13, v6
	v_sub_co_u32 v11, vcc_lo, v7, v11
	s_wait_alu 0xfffd
	s_delay_alu instid0(VALU_DEP_2)
	v_sub_co_ci_u32_e64 v12, null, v8, v6, vcc_lo
	s_cbranch_scc1 .LBB20_14
; %bb.11:                               ;   in Loop: Header=BB20_6 Depth=2
	s_cmp_eq_u32 s4, 0x7a
	s_cbranch_scc0 .LBB20_13
; %bb.12:                               ;   in Loop: Header=BB20_6 Depth=2
	v_lshlrev_b64_e32 v[13:14], 3, v[11:12]
	s_delay_alu instid0(VALU_DEP_1) | instskip(SKIP_1) | instid1(VALU_DEP_2)
	v_sub_co_u32 v6, vcc_lo, s22, v13
	s_wait_alu 0xfffd
	v_sub_co_ci_u32_e64 v13, null, s23, v14, vcc_lo
	s_delay_alu instid0(VALU_DEP_2) | instskip(NEXT) | instid1(VALU_DEP_2)
	v_cvt_f64_u32_e32 v[15:16], v6
	v_cvt_f64_u32_e32 v[13:14], v13
	s_delay_alu instid0(VALU_DEP_1) | instskip(NEXT) | instid1(VALU_DEP_1)
	v_ldexp_f64 v[13:14], v[13:14], 32
	v_add_f64_e32 v[13:14], v[13:14], v[15:16]
	s_delay_alu instid0(VALU_DEP_1) | instskip(SKIP_2) | instid1(VALU_DEP_1)
	v_cmp_gt_f64_e32 vcc_lo, 0x10000000, v[13:14]
	s_wait_alu 0xfffd
	v_cndmask_b32_e64 v6, 0, 0x100, vcc_lo
	v_ldexp_f64 v[13:14], v[13:14], v6
	v_cndmask_b32_e64 v6, 0, 0xffffff80, vcc_lo
	s_delay_alu instid0(VALU_DEP_2) | instskip(SKIP_1) | instid1(TRANS32_DEP_1)
	v_rsq_f64_e32 v[15:16], v[13:14]
	v_cmp_class_f64_e64 vcc_lo, v[13:14], 0x260
	v_mul_f64_e32 v[17:18], v[13:14], v[15:16]
	v_mul_f64_e32 v[15:16], 0.5, v[15:16]
	s_delay_alu instid0(VALU_DEP_1) | instskip(NEXT) | instid1(VALU_DEP_1)
	v_fma_f64 v[19:20], -v[15:16], v[17:18], 0.5
	v_fma_f64 v[17:18], v[17:18], v[19:20], v[17:18]
	v_fma_f64 v[15:16], v[15:16], v[19:20], v[15:16]
	s_delay_alu instid0(VALU_DEP_2) | instskip(NEXT) | instid1(VALU_DEP_1)
	v_fma_f64 v[19:20], -v[17:18], v[17:18], v[13:14]
	v_fma_f64 v[17:18], v[19:20], v[15:16], v[17:18]
	s_delay_alu instid0(VALU_DEP_1) | instskip(NEXT) | instid1(VALU_DEP_1)
	v_fma_f64 v[19:20], -v[17:18], v[17:18], v[13:14]
	v_fma_f64 v[15:16], v[19:20], v[15:16], v[17:18]
	s_delay_alu instid0(VALU_DEP_1) | instskip(SKIP_2) | instid1(VALU_DEP_2)
	v_ldexp_f64 v[15:16], v[15:16], v6
	v_mul_lo_u32 v6, v10, s8
	s_wait_alu 0xfffd
	v_dual_cndmask_b32 v14, v16, v14 :: v_dual_cndmask_b32 v13, v15, v13
	s_delay_alu instid0(VALU_DEP_1) | instskip(NEXT) | instid1(VALU_DEP_1)
	v_fma_f64 v[13:14], v[13:14], 0.5, -0.5
	v_floor_f64_e32 v[13:14], v[13:14]
	s_delay_alu instid0(VALU_DEP_1) | instskip(NEXT) | instid1(VALU_DEP_1)
	v_add_f64_e64 v[13:14], v[1:2], -v[13:14]
	v_trunc_f64_e32 v[13:14], v[13:14]
	s_delay_alu instid0(VALU_DEP_1) | instskip(NEXT) | instid1(VALU_DEP_1)
	v_ldexp_f64 v[15:16], v[13:14], 0xffffffe0
	v_floor_f64_e32 v[15:16], v[15:16]
	s_delay_alu instid0(VALU_DEP_1) | instskip(SKIP_2) | instid1(VALU_DEP_3)
	v_fma_f64 v[13:14], 0xc1f00000, v[15:16], v[13:14]
	v_cvt_u32_f64_e32 v15, v[15:16]
	v_mad_co_u64_u32 v[16:17], null, v9, s8, 0
	v_cvt_u32_f64_e32 v14, v[13:14]
	v_mul_lo_u32 v13, v9, s9
	s_delay_alu instid0(VALU_DEP_1) | instskip(SKIP_1) | instid1(VALU_DEP_2)
	v_add3_u32 v17, v17, v13, v6
	v_mul_lo_u32 v6, v15, s16
	v_lshlrev_b64_e32 v[16:17], 3, v[16:17]
	v_sub_co_u32 v13, vcc_lo, s18, v14
	s_wait_alu 0xfffd
	v_sub_co_ci_u32_e64 v22, null, s19, v15, vcc_lo
	v_mul_lo_u32 v23, v14, s17
	v_mad_co_u64_u32 v[18:19], null, v14, s16, 0
	v_add_co_u32 v24, vcc_lo, v13, -1
	s_wait_alu 0xfffd
	v_add_co_ci_u32_e64 v25, null, -1, v22, vcc_lo
	v_sub_co_u32 v20, vcc_lo, v11, s24
	s_delay_alu instid0(VALU_DEP_4) | instskip(NEXT) | instid1(VALU_DEP_3)
	v_add3_u32 v19, v19, v23, v6
	v_mul_lo_u32 v6, v25, v13
	v_mul_lo_u32 v25, v24, v22
	v_mad_co_u64_u32 v[22:23], null, v24, v13, 0
	s_wait_alu 0xfffd
	v_subrev_co_ci_u32_e64 v21, null, s25, v12, vcc_lo
	v_lshlrev_b64_e32 v[18:19], 3, v[18:19]
	v_add_co_u32 v13, vcc_lo, s38, v16
	s_wait_alu 0xfffd
	v_add_co_ci_u32_e64 v16, null, s39, v17, vcc_lo
	v_lshlrev_b64_e32 v[20:21], 3, v[20:21]
	v_add3_u32 v23, v23, v25, v6
	v_add_co_u32 v6, vcc_lo, v13, v18
	s_wait_alu 0xfffd
	v_add_co_ci_u32_e64 v18, null, v16, v19, vcc_lo
	s_delay_alu instid0(VALU_DEP_3) | instskip(SKIP_4) | instid1(VALU_DEP_4)
	v_lshlrev_b64_e32 v[16:17], 2, v[22:23]
	v_lshlrev_b64_e32 v[13:14], 3, v[14:15]
	v_add_co_u32 v6, vcc_lo, v6, v20
	s_wait_alu 0xfffd
	v_add_co_ci_u32_e64 v15, null, v18, v21, vcc_lo
	v_and_b32_e32 v16, -8, v16
	s_delay_alu instid0(VALU_DEP_3) | instskip(SKIP_1) | instid1(VALU_DEP_3)
	v_add_co_u32 v6, vcc_lo, v6, v13
	s_wait_alu 0xfffd
	v_add_co_ci_u32_e64 v14, null, v15, v14, vcc_lo
	s_delay_alu instid0(VALU_DEP_2) | instskip(SKIP_1) | instid1(VALU_DEP_2)
	v_add_co_u32 v13, vcc_lo, v6, v16
	s_wait_alu 0xfffd
	v_add_co_ci_u32_e64 v14, null, v14, v17, vcc_lo
	v_mov_b32_e32 v6, v5
	flat_store_b64 v[13:14], v[5:6] offset:8
.LBB20_13:                              ;   in Loop: Header=BB20_6 Depth=2
	s_mov_b32 s0, 0
.LBB20_14:                              ;   in Loop: Header=BB20_6 Depth=2
	s_wait_alu 0xfffe
	s_and_not1_b32 vcc_lo, exec_lo, s0
	s_wait_alu 0xfffe
	s_cbranch_vccnz .LBB20_5
; %bb.15:                               ;   in Loop: Header=BB20_6 Depth=2
	s_cmp_lg_u32 s4, 0x79
	s_cbranch_scc1 .LBB20_5
; %bb.16:                               ;   in Loop: Header=BB20_6 Depth=2
	v_lshlrev_b64_e32 v[13:14], 3, v[11:12]
	s_delay_alu instid0(VALU_DEP_1) | instskip(NEXT) | instid1(VALU_DEP_2)
	v_cvt_f64_u32_e32 v[14:15], v14
	v_or_b32_e32 v6, 1, v13
	s_delay_alu instid0(VALU_DEP_1) | instskip(NEXT) | instid1(VALU_DEP_3)
	v_cvt_f64_u32_e32 v[16:17], v6
	v_ldexp_f64 v[13:14], v[14:15], 32
	s_delay_alu instid0(VALU_DEP_1) | instskip(NEXT) | instid1(VALU_DEP_1)
	v_add_f64_e32 v[13:14], v[13:14], v[16:17]
	v_cmp_gt_f64_e32 vcc_lo, 0x10000000, v[13:14]
	s_wait_alu 0xfffd
	v_cndmask_b32_e64 v6, 0, 0x100, vcc_lo
	s_delay_alu instid0(VALU_DEP_1) | instskip(SKIP_1) | instid1(VALU_DEP_2)
	v_ldexp_f64 v[13:14], v[13:14], v6
	v_cndmask_b32_e64 v6, 0, 0xffffff80, vcc_lo
	v_rsq_f64_e32 v[15:16], v[13:14]
	v_cmp_class_f64_e64 vcc_lo, v[13:14], 0x260
	s_delay_alu instid0(TRANS32_DEP_1) | instskip(SKIP_1) | instid1(VALU_DEP_1)
	v_mul_f64_e32 v[17:18], v[13:14], v[15:16]
	v_mul_f64_e32 v[15:16], 0.5, v[15:16]
	v_fma_f64 v[19:20], -v[15:16], v[17:18], 0.5
	s_delay_alu instid0(VALU_DEP_1) | instskip(SKIP_1) | instid1(VALU_DEP_2)
	v_fma_f64 v[17:18], v[17:18], v[19:20], v[17:18]
	v_fma_f64 v[15:16], v[15:16], v[19:20], v[15:16]
	v_fma_f64 v[19:20], -v[17:18], v[17:18], v[13:14]
	s_delay_alu instid0(VALU_DEP_1) | instskip(NEXT) | instid1(VALU_DEP_1)
	v_fma_f64 v[17:18], v[19:20], v[15:16], v[17:18]
	v_fma_f64 v[19:20], -v[17:18], v[17:18], v[13:14]
	s_delay_alu instid0(VALU_DEP_1) | instskip(SKIP_1) | instid1(VALU_DEP_2)
	v_fma_f64 v[15:16], v[19:20], v[15:16], v[17:18]
	v_mul_lo_u32 v18, v9, s9
	v_ldexp_f64 v[15:16], v[15:16], v6
	v_mul_lo_u32 v6, v10, s8
	v_mad_co_u64_u32 v[9:10], null, v9, s8, 0
	s_delay_alu instid0(VALU_DEP_1) | instskip(NEXT) | instid1(VALU_DEP_1)
	v_add3_u32 v10, v10, v18, v6
	v_lshlrev_b64_e32 v[9:10], 3, v[9:10]
	s_wait_alu 0xfffd
	v_dual_cndmask_b32 v14, v16, v14 :: v_dual_cndmask_b32 v13, v15, v13
	s_delay_alu instid0(VALU_DEP_1) | instskip(NEXT) | instid1(VALU_DEP_1)
	v_add_f64_e32 v[13:14], -1.0, v[13:14]
	v_mul_f64_e32 v[13:14], 0.5, v[13:14]
	s_delay_alu instid0(VALU_DEP_1) | instskip(NEXT) | instid1(VALU_DEP_1)
	v_trunc_f64_e32 v[13:14], v[13:14]
	v_ldexp_f64 v[15:16], v[13:14], 0xffffffe0
	s_delay_alu instid0(VALU_DEP_1) | instskip(NEXT) | instid1(VALU_DEP_1)
	v_floor_f64_e32 v[15:16], v[15:16]
	v_fma_f64 v[13:14], 0xc1f00000, v[15:16], v[13:14]
	v_cvt_u32_f64_e32 v15, v[15:16]
	s_delay_alu instid0(VALU_DEP_2) | instskip(NEXT) | instid1(VALU_DEP_1)
	v_cvt_u32_f64_e32 v14, v[13:14]
	v_mad_co_u64_u32 v[16:17], null, v14, v14, v[14:15]
	v_mul_lo_u32 v19, v14, v15
	v_mul_lo_u32 v15, s16, v15
	;; [unrolled: 1-line block ×3, first 2 shown]
	v_mad_co_u64_u32 v[13:14], null, s16, v14, s[16:17]
	s_delay_alu instid0(VALU_DEP_4) | instskip(NEXT) | instid1(VALU_DEP_2)
	v_add3_u32 v17, v19, v17, v19
	v_add3_u32 v14, v20, v14, v15
	s_delay_alu instid0(VALU_DEP_2) | instskip(NEXT) | instid1(VALU_DEP_2)
	v_lshrrev_b64 v[15:16], 1, v[16:17]
	v_lshlrev_b64_e32 v[13:14], 3, v[13:14]
	s_delay_alu instid0(VALU_DEP_2) | instskip(SKIP_1) | instid1(VALU_DEP_3)
	v_sub_co_u32 v11, vcc_lo, v11, v15
	s_wait_alu 0xfffd
	v_sub_co_ci_u32_e64 v12, null, v12, v16, vcc_lo
	v_add_co_u32 v6, vcc_lo, s38, v9
	s_wait_alu 0xfffd
	v_add_co_ci_u32_e64 v15, null, s39, v10, vcc_lo
	s_delay_alu instid0(VALU_DEP_3) | instskip(NEXT) | instid1(VALU_DEP_3)
	v_lshlrev_b64_e32 v[9:10], 3, v[11:12]
	v_add_co_u32 v6, vcc_lo, v6, v13
	s_wait_alu 0xfffd
	s_delay_alu instid0(VALU_DEP_3) | instskip(NEXT) | instid1(VALU_DEP_2)
	v_add_co_ci_u32_e64 v11, null, v15, v14, vcc_lo
	v_add_co_u32 v9, vcc_lo, v6, v9
	s_wait_alu 0xfffd
	s_delay_alu instid0(VALU_DEP_2)
	v_add_co_ci_u32_e64 v10, null, v11, v10, vcc_lo
	v_mov_b32_e32 v6, v5
	flat_store_b64 v[9:10], v[5:6]
	s_branch .LBB20_5
.LBB20_17:
	s_endpgm
	.section	.rodata,"a",@progbits
	.p2align	6, 0x0
	.amdhsa_kernel _ZL18rocblas_trtri_fillILi128EdPKPdEvP15_rocblas_handle13rocblas_fill_ililT1_llii
		.amdhsa_group_segment_fixed_size 0
		.amdhsa_private_segment_fixed_size 0
		.amdhsa_kernarg_size 328
		.amdhsa_user_sgpr_count 2
		.amdhsa_user_sgpr_dispatch_ptr 0
		.amdhsa_user_sgpr_queue_ptr 0
		.amdhsa_user_sgpr_kernarg_segment_ptr 1
		.amdhsa_user_sgpr_dispatch_id 0
		.amdhsa_user_sgpr_private_segment_size 0
		.amdhsa_wavefront_size32 1
		.amdhsa_uses_dynamic_stack 0
		.amdhsa_enable_private_segment 0
		.amdhsa_system_sgpr_workgroup_id_x 1
		.amdhsa_system_sgpr_workgroup_id_y 0
		.amdhsa_system_sgpr_workgroup_id_z 1
		.amdhsa_system_sgpr_workgroup_info 0
		.amdhsa_system_vgpr_workitem_id 0
		.amdhsa_next_free_vgpr 26
		.amdhsa_next_free_sgpr 47
		.amdhsa_reserve_vcc 1
		.amdhsa_float_round_mode_32 0
		.amdhsa_float_round_mode_16_64 0
		.amdhsa_float_denorm_mode_32 3
		.amdhsa_float_denorm_mode_16_64 3
		.amdhsa_fp16_overflow 0
		.amdhsa_workgroup_processor_mode 1
		.amdhsa_memory_ordered 1
		.amdhsa_forward_progress 1
		.amdhsa_inst_pref_size 19
		.amdhsa_round_robin_scheduling 0
		.amdhsa_exception_fp_ieee_invalid_op 0
		.amdhsa_exception_fp_denorm_src 0
		.amdhsa_exception_fp_ieee_div_zero 0
		.amdhsa_exception_fp_ieee_overflow 0
		.amdhsa_exception_fp_ieee_underflow 0
		.amdhsa_exception_fp_ieee_inexact 0
		.amdhsa_exception_int_div_zero 0
	.end_amdhsa_kernel
	.section	.text._ZL18rocblas_trtri_fillILi128EdPKPdEvP15_rocblas_handle13rocblas_fill_ililT1_llii,"axG",@progbits,_ZL18rocblas_trtri_fillILi128EdPKPdEvP15_rocblas_handle13rocblas_fill_ililT1_llii,comdat
.Lfunc_end20:
	.size	_ZL18rocblas_trtri_fillILi128EdPKPdEvP15_rocblas_handle13rocblas_fill_ililT1_llii, .Lfunc_end20-_ZL18rocblas_trtri_fillILi128EdPKPdEvP15_rocblas_handle13rocblas_fill_ililT1_llii
                                        ; -- End function
	.set _ZL18rocblas_trtri_fillILi128EdPKPdEvP15_rocblas_handle13rocblas_fill_ililT1_llii.num_vgpr, 26
	.set _ZL18rocblas_trtri_fillILi128EdPKPdEvP15_rocblas_handle13rocblas_fill_ililT1_llii.num_agpr, 0
	.set _ZL18rocblas_trtri_fillILi128EdPKPdEvP15_rocblas_handle13rocblas_fill_ililT1_llii.numbered_sgpr, 47
	.set _ZL18rocblas_trtri_fillILi128EdPKPdEvP15_rocblas_handle13rocblas_fill_ililT1_llii.num_named_barrier, 0
	.set _ZL18rocblas_trtri_fillILi128EdPKPdEvP15_rocblas_handle13rocblas_fill_ililT1_llii.private_seg_size, 0
	.set _ZL18rocblas_trtri_fillILi128EdPKPdEvP15_rocblas_handle13rocblas_fill_ililT1_llii.uses_vcc, 1
	.set _ZL18rocblas_trtri_fillILi128EdPKPdEvP15_rocblas_handle13rocblas_fill_ililT1_llii.uses_flat_scratch, 0
	.set _ZL18rocblas_trtri_fillILi128EdPKPdEvP15_rocblas_handle13rocblas_fill_ililT1_llii.has_dyn_sized_stack, 0
	.set _ZL18rocblas_trtri_fillILi128EdPKPdEvP15_rocblas_handle13rocblas_fill_ililT1_llii.has_recursion, 0
	.set _ZL18rocblas_trtri_fillILi128EdPKPdEvP15_rocblas_handle13rocblas_fill_ililT1_llii.has_indirect_call, 0
	.section	.AMDGPU.csdata,"",@progbits
; Kernel info:
; codeLenInByte = 2432
; TotalNumSgprs: 49
; NumVgprs: 26
; ScratchSize: 0
; MemoryBound: 0
; FloatMode: 240
; IeeeMode: 1
; LDSByteSize: 0 bytes/workgroup (compile time only)
; SGPRBlocks: 0
; VGPRBlocks: 3
; NumSGPRsForWavesPerEU: 49
; NumVGPRsForWavesPerEU: 26
; Occupancy: 16
; WaveLimiterHint : 1
; COMPUTE_PGM_RSRC2:SCRATCH_EN: 0
; COMPUTE_PGM_RSRC2:USER_SGPR: 2
; COMPUTE_PGM_RSRC2:TRAP_HANDLER: 0
; COMPUTE_PGM_RSRC2:TGID_X_EN: 1
; COMPUTE_PGM_RSRC2:TGID_Y_EN: 0
; COMPUTE_PGM_RSRC2:TGID_Z_EN: 1
; COMPUTE_PGM_RSRC2:TIDIG_COMP_CNT: 0
	.section	.text._ZL26rocblas_trtri_small_kernelILi16EdPKPKdPKPdEv13rocblas_fill_17rocblas_diagonal_iT1_lillT2_lilli,"axG",@progbits,_ZL26rocblas_trtri_small_kernelILi16EdPKPKdPKPdEv13rocblas_fill_17rocblas_diagonal_iT1_lillT2_lilli,comdat
	.globl	_ZL26rocblas_trtri_small_kernelILi16EdPKPKdPKPdEv13rocblas_fill_17rocblas_diagonal_iT1_lillT2_lilli ; -- Begin function _ZL26rocblas_trtri_small_kernelILi16EdPKPKdPKPdEv13rocblas_fill_17rocblas_diagonal_iT1_lillT2_lilli
	.p2align	8
	.type	_ZL26rocblas_trtri_small_kernelILi16EdPKPKdPKPdEv13rocblas_fill_17rocblas_diagonal_iT1_lillT2_lilli,@function
_ZL26rocblas_trtri_small_kernelILi16EdPKPKdPKPdEv13rocblas_fill_17rocblas_diagonal_iT1_lillT2_lilli: ; @_ZL26rocblas_trtri_small_kernelILi16EdPKPKdPKPdEv13rocblas_fill_17rocblas_diagonal_iT1_lillT2_lilli
; %bb.0:
	s_load_b32 s15, s[0:1], 0x60
	s_lshr_b32 s2, ttmp7, 16
	s_wait_kmcnt 0x0
	s_cmp_ge_u32 s2, s15
	s_cbranch_scc1 .LBB21_38
; %bb.1:
	s_clause 0x5
	s_load_b32 s22, s[0:1], 0x20
	s_load_b96 s[16:18], s[0:1], 0x40
	s_load_b128 s[4:7], s[0:1], 0x30
	s_load_b64 s[24:25], s[0:1], 0x58
	s_load_b96 s[12:14], s[0:1], 0x0
	s_load_b128 s[8:11], s[0:1], 0x10
	s_mov_b32 s3, 0
	s_mov_b32 s20, ttmp9
	s_mov_b32 s21, s3
	s_mov_b32 s27, s3
	v_dual_mov_b32 v7, 0 :: v_dual_lshlrev_b32 v8, 3, v0
	v_add_nc_u32_e32 v13, 1, v0
	v_lshlrev_b32_e32 v17, 3, v0
	s_wait_kmcnt 0x0
	s_ashr_i32 s23, s22, 31
	s_ashr_i32 s35, s18, 31
	s_mul_u64 s[4:5], s[4:5], s[20:21]
	s_mov_b32 s34, s18
	s_cmp_gt_i32 s14, 0
	s_mul_u64 s[20:21], s[24:25], s[20:21]
	s_cselect_b32 s28, -1, 0
	s_cmp_lg_u32 s12, 0x7a
	v_mul_lo_u32 v1, v0, s14
	s_cselect_b32 s29, -1, 0
	s_add_co_i32 s26, s14, -1
	s_cmp_lg_u32 s13, 0x84
	s_mul_u64 s[12:13], s[22:23], s[26:27]
	s_cselect_b32 s30, -1, 0
	s_lshl_b64 s[4:5], s[4:5], 3
	s_lshl_b64 s[12:13], s[12:13], 3
	;; [unrolled: 1-line block ×3, first 2 shown]
	s_add_nc_u64 s[12:13], s[4:5], s[12:13]
	s_lshl_b64 s[20:21], s[20:21], 3
	s_add_nc_u64 s[18:19], s[12:13], s[10:11]
	s_lshl_b64 s[12:13], s[22:23], 3
	s_mul_u64 s[22:23], s[34:35], s[26:27]
	s_lshl_b64 s[16:17], s[16:17], 3
	s_lshl_b64 s[22:23], s[22:23], 3
	v_sub_nc_u32_e32 v2, s26, v0
	s_add_nc_u64 s[22:23], s[20:21], s[22:23]
	v_add_co_u32 v11, s1, s18, v8
	s_add_nc_u64 s[22:23], s[22:23], s[16:17]
	s_lshl_b32 s31, s14, 3
	v_add_co_ci_u32_e64 v12, null, s19, 0, s1
	v_add_co_u32 v15, s1, s22, v8
	v_cmp_gt_u32_e64 s0, s14, v0
	v_add_lshl_u32 v9, v1, v0, 3
	v_lshlrev_b32_e32 v10, 3, v2
	v_add_nc_u32_e32 v14, s31, v8
	s_wait_alu 0xf1ff
	v_add_co_ci_u32_e64 v16, null, s23, 0, s1
	s_lshl_b64 s[22:23], s[34:35], 3
	s_sub_nc_u64 s[18:19], 0, s[12:13]
	s_add_co_i32 s33, s31, 8
	s_wait_alu 0xfffe
	s_sub_nc_u64 s[24:25], 0, s[22:23]
	s_branch .LBB21_4
.LBB21_2:                               ;   in Loop: Header=BB21_4 Depth=1
	s_wait_alu 0xfffe
	s_or_b32 exec_lo, exec_lo, s26
.LBB21_3:                               ;   in Loop: Header=BB21_4 Depth=1
	s_add_co_i32 s2, s2, 0x10000
	s_delay_alu instid0(SALU_CYCLE_1)
	s_cmp_lt_u32 s2, s15
	s_cbranch_scc0 .LBB21_38
.LBB21_4:                               ; =>This Loop Header: Depth=1
                                        ;     Child Loop BB21_8 Depth 2
                                        ;     Child Loop BB21_12 Depth 2
	;; [unrolled: 1-line block ×3, first 2 shown]
                                        ;       Child Loop BB21_26 Depth 3
                                        ;     Child Loop BB21_33 Depth 2
                                        ;     Child Loop BB21_37 Depth 2
	s_and_not1_b32 vcc_lo, exec_lo, s28
	s_wait_alu 0xfffe
	s_cbranch_vccnz .LBB21_3
; %bb.5:                                ;   in Loop: Header=BB21_4 Depth=1
	s_lshl_b64 s[26:27], s[2:3], 3
	s_wait_alu 0xfffe
	s_add_nc_u64 s[34:35], s[6:7], s[26:27]
	global_load_b64 v[1:2], v7, s[34:35]
	s_and_saveexec_b32 s34, s0
	s_cbranch_execz .LBB21_13
; %bb.6:                                ;   in Loop: Header=BB21_4 Depth=1
	s_add_nc_u64 s[26:27], s[8:9], s[26:27]
	s_and_not1_b32 vcc_lo, exec_lo, s29
	global_load_b64 v[3:4], v7, s[26:27]
	s_mov_b32 s1, -1
	s_wait_alu 0xfffe
	s_cbranch_vccnz .LBB21_10
; %bb.7:                                ;   in Loop: Header=BB21_4 Depth=1
	s_wait_loadcnt 0x0
	v_add_co_u32 v5, vcc_lo, v3, v11
	s_wait_alu 0xfffd
	v_add_co_ci_u32_e64 v6, null, v4, v12, vcc_lo
	v_mov_b32_e32 v18, v10
	s_mov_b32 s26, 0
	s_mov_b32 s27, s14
.LBB21_8:                               ;   Parent Loop BB21_4 Depth=1
                                        ; =>  This Inner Loop Header: Depth=2
	flat_load_b64 v[19:20], v[5:6]
	s_wait_alu 0xfffe
	s_add_co_i32 s27, s27, -1
	v_add_co_u32 v5, vcc_lo, v5, s18
	s_wait_alu 0xfffe
	v_cmp_le_u32_e64 s1, s27, v0
	s_wait_alu 0xfffd
	v_add_co_ci_u32_e64 v6, null, s19, v6, vcc_lo
	s_or_b32 s26, s1, s26
	s_wait_loadcnt_dscnt 0x0
	ds_store_b64 v18, v[19:20]
	v_add_nc_u32_e32 v18, s31, v18
	s_wait_alu 0xfffe
	s_and_not1_b32 exec_lo, exec_lo, s26
	s_cbranch_execnz .LBB21_8
; %bb.9:                                ;   in Loop: Header=BB21_4 Depth=1
	s_or_b32 exec_lo, exec_lo, s26
	s_mov_b32 s1, 0
.LBB21_10:                              ;   in Loop: Header=BB21_4 Depth=1
	s_wait_alu 0xfffe
	s_and_b32 vcc_lo, exec_lo, s1
	s_wait_alu 0xfffe
	s_cbranch_vccz .LBB21_13
; %bb.11:                               ;   in Loop: Header=BB21_4 Depth=1
	s_wait_loadcnt 0x0
	v_add_co_u32 v3, vcc_lo, v3, s10
	s_wait_alu 0xfffd
	v_add_co_ci_u32_e64 v4, null, s11, v4, vcc_lo
	v_dual_mov_b32 v5, v8 :: v_dual_mov_b32 v6, v13
	s_delay_alu instid0(VALU_DEP_3) | instskip(SKIP_1) | instid1(VALU_DEP_3)
	v_add_co_u32 v3, vcc_lo, v3, s4
	s_wait_alu 0xfffd
	v_add_co_ci_u32_e64 v4, null, s5, v4, vcc_lo
	s_mov_b32 s26, 0
	v_add_co_u32 v3, vcc_lo, v3, v17
	s_wait_alu 0xfffd
	v_add_co_ci_u32_e64 v4, null, 0, v4, vcc_lo
.LBB21_12:                              ;   Parent Loop BB21_4 Depth=1
                                        ; =>  This Inner Loop Header: Depth=2
	flat_load_b64 v[18:19], v[3:4]
	v_add_nc_u32_e32 v6, -1, v6
	v_add_co_u32 v3, vcc_lo, v3, s12
	s_wait_alu 0xfffd
	v_add_co_ci_u32_e64 v4, null, s13, v4, vcc_lo
	s_delay_alu instid0(VALU_DEP_3)
	v_cmp_eq_u32_e64 s1, 0, v6
	s_wait_alu 0xfffe
	s_or_b32 s26, s1, s26
	s_wait_loadcnt_dscnt 0x0
	ds_store_b64 v5, v[18:19]
	v_add_nc_u32_e32 v5, s31, v5
	s_wait_alu 0xfffe
	s_and_not1_b32 exec_lo, exec_lo, s26
	s_cbranch_execnz .LBB21_12
.LBB21_13:                              ;   in Loop: Header=BB21_4 Depth=1
	s_wait_alu 0xfffe
	s_or_b32 exec_lo, exec_lo, s34
	; wave barrier
	s_wait_loadcnt_dscnt 0x0
	global_inv scope:SCOPE_SE
	s_and_saveexec_b32 s1, s0
	s_cbranch_execz .LBB21_19
; %bb.14:                               ;   in Loop: Header=BB21_4 Depth=1
	v_mov_b32_e32 v5, 0
	v_mov_b32_e32 v6, 0x3ff00000
	s_and_not1_b32 vcc_lo, exec_lo, s30
	s_wait_alu 0xfffe
	s_cbranch_vccnz .LBB21_18
; %bb.15:                               ;   in Loop: Header=BB21_4 Depth=1
	ds_load_b64 v[3:4], v9
	v_mov_b32_e32 v5, 0
	v_mov_b32_e32 v6, 0x3ff00000
	s_mov_b32 s26, exec_lo
	s_wait_dscnt 0x0
	v_cmpx_neq_f64_e32 0, v[3:4]
	s_cbranch_execz .LBB21_17
; %bb.16:                               ;   in Loop: Header=BB21_4 Depth=1
	v_div_scale_f64 v[5:6], null, v[3:4], v[3:4], 1.0
	s_delay_alu instid0(VALU_DEP_1) | instskip(NEXT) | instid1(TRANS32_DEP_1)
	v_rcp_f64_e32 v[18:19], v[5:6]
	v_fma_f64 v[20:21], -v[5:6], v[18:19], 1.0
	s_delay_alu instid0(VALU_DEP_1) | instskip(NEXT) | instid1(VALU_DEP_1)
	v_fma_f64 v[18:19], v[18:19], v[20:21], v[18:19]
	v_fma_f64 v[20:21], -v[5:6], v[18:19], 1.0
	s_delay_alu instid0(VALU_DEP_1) | instskip(SKIP_1) | instid1(VALU_DEP_1)
	v_fma_f64 v[18:19], v[18:19], v[20:21], v[18:19]
	v_div_scale_f64 v[20:21], vcc_lo, 1.0, v[3:4], 1.0
	v_mul_f64_e32 v[22:23], v[20:21], v[18:19]
	s_delay_alu instid0(VALU_DEP_1) | instskip(SKIP_1) | instid1(VALU_DEP_1)
	v_fma_f64 v[5:6], -v[5:6], v[22:23], v[20:21]
	s_wait_alu 0xfffd
	v_div_fmas_f64 v[5:6], v[5:6], v[18:19], v[22:23]
	s_delay_alu instid0(VALU_DEP_1)
	v_div_fixup_f64 v[5:6], v[5:6], v[3:4], 1.0
.LBB21_17:                              ;   in Loop: Header=BB21_4 Depth=1
	s_wait_alu 0xfffe
	s_or_b32 exec_lo, exec_lo, s26
.LBB21_18:                              ;   in Loop: Header=BB21_4 Depth=1
	ds_store_b64 v9, v[5:6]
.LBB21_19:                              ;   in Loop: Header=BB21_4 Depth=1
	s_wait_alu 0xfffe
	s_or_b32 exec_lo, exec_lo, s1
	v_mov_b32_e32 v5, v14
	s_mov_b32 s1, 0
	s_mov_b32 s26, 8
	; wave barrier
	s_wait_loadcnt_dscnt 0x0
	global_inv scope:SCOPE_SE
	s_branch .LBB21_21
.LBB21_20:                              ;   in Loop: Header=BB21_21 Depth=2
	v_add_nc_u32_e32 v5, s31, v5
	s_add_co_i32 s26, s26, s33
	s_cmp_eq_u32 s1, s14
	s_wait_loadcnt 0x0
	; wave barrier
	global_inv scope:SCOPE_SE
	s_cbranch_scc1 .LBB21_30
.LBB21_21:                              ;   Parent Loop BB21_4 Depth=1
                                        ; =>  This Loop Header: Depth=2
                                        ;       Child Loop BB21_26 Depth 3
	v_mov_b32_e32 v3, 0
	v_mov_b32_e32 v4, 0
	s_wait_alu 0xfffe
	s_mul_i32 s27, s1, s14
	s_mov_b32 s34, exec_lo
	v_cmpx_lt_u32_e64 s1, v0
	s_cbranch_execz .LBB21_23
; %bb.22:                               ;   in Loop: Header=BB21_21 Depth=2
	s_lshl_b32 s35, s1, 3
	s_wait_alu 0xfffe
	s_lshl_b32 s36, s27, 3
	s_wait_alu 0xfffe
	s_add_co_i32 s35, s35, s36
	s_wait_alu 0xfffe
	v_dual_mov_b32 v6, s35 :: v_dual_add_nc_u32 v3, s36, v8
	ds_load_b64 v[3:4], v3
	ds_load_b64 v[18:19], v6
	s_wait_dscnt 0x0
	v_fma_f64 v[3:4], v[3:4], v[18:19], 0
.LBB21_23:                              ;   in Loop: Header=BB21_21 Depth=2
	s_wait_alu 0xfffe
	s_or_b32 exec_lo, exec_lo, s34
	s_add_co_i32 s1, s1, 1
	s_wait_loadcnt 0x0
	s_wait_alu 0xfffe
	s_cmp_ge_i32 s1, s14
	; wave barrier
	global_inv scope:SCOPE_SE
	s_cbranch_scc1 .LBB21_20
; %bb.24:                               ;   in Loop: Header=BB21_21 Depth=2
	v_lshl_add_u32 v6, s27, 3, v8
	v_mov_b32_e32 v18, v5
	s_mov_b32 s27, s26
	s_mov_b32 s34, s1
	s_branch .LBB21_26
.LBB21_25:                              ;   in Loop: Header=BB21_26 Depth=3
	s_wait_alu 0xfffe
	s_or_b32 exec_lo, exec_lo, s35
	v_add_nc_u32_e32 v18, s31, v18
	s_add_co_i32 s34, s34, 1
	s_add_co_i32 s27, s27, 8
	s_wait_alu 0xfffe
	s_cmp_eq_u32 s14, s34
	s_wait_loadcnt 0x0
	; wave barrier
	global_inv scope:SCOPE_SE
	s_cbranch_scc1 .LBB21_20
.LBB21_26:                              ;   Parent Loop BB21_4 Depth=1
                                        ;     Parent Loop BB21_21 Depth=2
                                        ; =>    This Inner Loop Header: Depth=3
	s_mov_b32 s35, exec_lo
	s_wait_alu 0xfffe
	v_cmpx_eq_u32_e64 s34, v0
	s_cbranch_execz .LBB21_28
; %bb.27:                               ;   in Loop: Header=BB21_26 Depth=3
	v_add_f64_e64 v[19:20], -v[3:4], 0
	ds_load_b64 v[21:22], v9
	s_wait_dscnt 0x0
	v_mul_f64_e32 v[19:20], v[19:20], v[21:22]
	ds_store_b64 v6, v[19:20]
.LBB21_28:                              ;   in Loop: Header=BB21_26 Depth=3
	s_or_b32 exec_lo, exec_lo, s35
	s_delay_alu instid0(SALU_CYCLE_1)
	s_mov_b32 s35, exec_lo
	; wave barrier
	s_wait_loadcnt_dscnt 0x0
	global_inv scope:SCOPE_SE
	v_cmpx_lt_u32_e64 s34, v0
	s_cbranch_execz .LBB21_25
; %bb.29:                               ;   in Loop: Header=BB21_26 Depth=3
	v_mov_b32_e32 v21, s27
	ds_load_b64 v[19:20], v18
	ds_load_b64 v[21:22], v21
	s_wait_dscnt 0x0
	v_fma_f64 v[3:4], v[19:20], v[21:22], v[3:4]
	s_branch .LBB21_25
.LBB21_30:                              ;   in Loop: Header=BB21_4 Depth=1
	s_and_saveexec_b32 s26, s0
	s_cbranch_execz .LBB21_2
; %bb.31:                               ;   in Loop: Header=BB21_4 Depth=1
	s_and_not1_b32 vcc_lo, exec_lo, s29
	s_mov_b32 s1, -1
	s_wait_alu 0xfffe
	s_cbranch_vccnz .LBB21_35
; %bb.32:                               ;   in Loop: Header=BB21_4 Depth=1
	v_add_co_u32 v3, vcc_lo, v1, v15
	s_wait_alu 0xfffd
	v_add_co_ci_u32_e64 v4, null, v2, v16, vcc_lo
	v_mov_b32_e32 v5, v10
	s_mov_b32 s27, 0
	s_mov_b32 s34, s14
.LBB21_33:                              ;   Parent Loop BB21_4 Depth=1
                                        ; =>  This Inner Loop Header: Depth=2
	ds_load_b64 v[18:19], v5
	s_wait_alu 0xfffe
	s_add_co_i32 s34, s34, -1
	v_add_nc_u32_e32 v5, s31, v5
	s_wait_alu 0xfffe
	v_cmp_le_u32_e32 vcc_lo, s34, v0
	s_or_b32 s27, vcc_lo, s27
	s_wait_dscnt 0x0
	flat_store_b64 v[3:4], v[18:19]
	v_add_co_u32 v3, s1, v3, s24
	s_wait_alu 0xf1ff
	v_add_co_ci_u32_e64 v4, null, s25, v4, s1
	s_wait_alu 0xfffe
	s_and_not1_b32 exec_lo, exec_lo, s27
	s_cbranch_execnz .LBB21_33
; %bb.34:                               ;   in Loop: Header=BB21_4 Depth=1
	s_or_b32 exec_lo, exec_lo, s27
	s_mov_b32 s1, 0
.LBB21_35:                              ;   in Loop: Header=BB21_4 Depth=1
	s_wait_alu 0xfffe
	s_and_b32 vcc_lo, exec_lo, s1
	s_wait_alu 0xfffe
	s_cbranch_vccz .LBB21_2
; %bb.36:                               ;   in Loop: Header=BB21_4 Depth=1
	v_add_co_u32 v1, vcc_lo, v1, s16
	s_wait_alu 0xfffd
	v_add_co_ci_u32_e64 v2, null, s17, v2, vcc_lo
	v_dual_mov_b32 v3, v8 :: v_dual_mov_b32 v4, v13
	s_delay_alu instid0(VALU_DEP_3) | instskip(SKIP_1) | instid1(VALU_DEP_3)
	v_add_co_u32 v1, vcc_lo, v1, s20
	s_wait_alu 0xfffd
	v_add_co_ci_u32_e64 v2, null, s21, v2, vcc_lo
	s_mov_b32 s27, 0
	v_add_co_u32 v1, vcc_lo, v1, v17
	s_wait_alu 0xfffd
	v_add_co_ci_u32_e64 v2, null, 0, v2, vcc_lo
.LBB21_37:                              ;   Parent Loop BB21_4 Depth=1
                                        ; =>  This Inner Loop Header: Depth=2
	ds_load_b64 v[5:6], v3
	v_add_nc_u32_e32 v4, -1, v4
	v_add_nc_u32_e32 v3, s31, v3
	s_delay_alu instid0(VALU_DEP_2)
	v_cmp_eq_u32_e32 vcc_lo, 0, v4
	s_wait_alu 0xfffe
	s_or_b32 s27, vcc_lo, s27
	s_wait_dscnt 0x0
	flat_store_b64 v[1:2], v[5:6]
	v_add_co_u32 v1, s1, v1, s22
	s_wait_alu 0xf1ff
	v_add_co_ci_u32_e64 v2, null, s23, v2, s1
	s_wait_alu 0xfffe
	s_and_not1_b32 exec_lo, exec_lo, s27
	s_cbranch_execnz .LBB21_37
	s_branch .LBB21_2
.LBB21_38:
	s_endpgm
	.section	.rodata,"a",@progbits
	.p2align	6, 0x0
	.amdhsa_kernel _ZL26rocblas_trtri_small_kernelILi16EdPKPKdPKPdEv13rocblas_fill_17rocblas_diagonal_iT1_lillT2_lilli
		.amdhsa_group_segment_fixed_size 2048
		.amdhsa_private_segment_fixed_size 0
		.amdhsa_kernarg_size 100
		.amdhsa_user_sgpr_count 2
		.amdhsa_user_sgpr_dispatch_ptr 0
		.amdhsa_user_sgpr_queue_ptr 0
		.amdhsa_user_sgpr_kernarg_segment_ptr 1
		.amdhsa_user_sgpr_dispatch_id 0
		.amdhsa_user_sgpr_private_segment_size 0
		.amdhsa_wavefront_size32 1
		.amdhsa_uses_dynamic_stack 0
		.amdhsa_enable_private_segment 0
		.amdhsa_system_sgpr_workgroup_id_x 1
		.amdhsa_system_sgpr_workgroup_id_y 0
		.amdhsa_system_sgpr_workgroup_id_z 1
		.amdhsa_system_sgpr_workgroup_info 0
		.amdhsa_system_vgpr_workitem_id 0
		.amdhsa_next_free_vgpr 24
		.amdhsa_next_free_sgpr 37
		.amdhsa_reserve_vcc 1
		.amdhsa_float_round_mode_32 0
		.amdhsa_float_round_mode_16_64 0
		.amdhsa_float_denorm_mode_32 3
		.amdhsa_float_denorm_mode_16_64 3
		.amdhsa_fp16_overflow 0
		.amdhsa_workgroup_processor_mode 1
		.amdhsa_memory_ordered 1
		.amdhsa_forward_progress 1
		.amdhsa_inst_pref_size 14
		.amdhsa_round_robin_scheduling 0
		.amdhsa_exception_fp_ieee_invalid_op 0
		.amdhsa_exception_fp_denorm_src 0
		.amdhsa_exception_fp_ieee_div_zero 0
		.amdhsa_exception_fp_ieee_overflow 0
		.amdhsa_exception_fp_ieee_underflow 0
		.amdhsa_exception_fp_ieee_inexact 0
		.amdhsa_exception_int_div_zero 0
	.end_amdhsa_kernel
	.section	.text._ZL26rocblas_trtri_small_kernelILi16EdPKPKdPKPdEv13rocblas_fill_17rocblas_diagonal_iT1_lillT2_lilli,"axG",@progbits,_ZL26rocblas_trtri_small_kernelILi16EdPKPKdPKPdEv13rocblas_fill_17rocblas_diagonal_iT1_lillT2_lilli,comdat
.Lfunc_end21:
	.size	_ZL26rocblas_trtri_small_kernelILi16EdPKPKdPKPdEv13rocblas_fill_17rocblas_diagonal_iT1_lillT2_lilli, .Lfunc_end21-_ZL26rocblas_trtri_small_kernelILi16EdPKPKdPKPdEv13rocblas_fill_17rocblas_diagonal_iT1_lillT2_lilli
                                        ; -- End function
	.set _ZL26rocblas_trtri_small_kernelILi16EdPKPKdPKPdEv13rocblas_fill_17rocblas_diagonal_iT1_lillT2_lilli.num_vgpr, 24
	.set _ZL26rocblas_trtri_small_kernelILi16EdPKPKdPKPdEv13rocblas_fill_17rocblas_diagonal_iT1_lillT2_lilli.num_agpr, 0
	.set _ZL26rocblas_trtri_small_kernelILi16EdPKPKdPKPdEv13rocblas_fill_17rocblas_diagonal_iT1_lillT2_lilli.numbered_sgpr, 37
	.set _ZL26rocblas_trtri_small_kernelILi16EdPKPKdPKPdEv13rocblas_fill_17rocblas_diagonal_iT1_lillT2_lilli.num_named_barrier, 0
	.set _ZL26rocblas_trtri_small_kernelILi16EdPKPKdPKPdEv13rocblas_fill_17rocblas_diagonal_iT1_lillT2_lilli.private_seg_size, 0
	.set _ZL26rocblas_trtri_small_kernelILi16EdPKPKdPKPdEv13rocblas_fill_17rocblas_diagonal_iT1_lillT2_lilli.uses_vcc, 1
	.set _ZL26rocblas_trtri_small_kernelILi16EdPKPKdPKPdEv13rocblas_fill_17rocblas_diagonal_iT1_lillT2_lilli.uses_flat_scratch, 0
	.set _ZL26rocblas_trtri_small_kernelILi16EdPKPKdPKPdEv13rocblas_fill_17rocblas_diagonal_iT1_lillT2_lilli.has_dyn_sized_stack, 0
	.set _ZL26rocblas_trtri_small_kernelILi16EdPKPKdPKPdEv13rocblas_fill_17rocblas_diagonal_iT1_lillT2_lilli.has_recursion, 0
	.set _ZL26rocblas_trtri_small_kernelILi16EdPKPKdPKPdEv13rocblas_fill_17rocblas_diagonal_iT1_lillT2_lilli.has_indirect_call, 0
	.section	.AMDGPU.csdata,"",@progbits
; Kernel info:
; codeLenInByte = 1672
; TotalNumSgprs: 39
; NumVgprs: 24
; ScratchSize: 0
; MemoryBound: 0
; FloatMode: 240
; IeeeMode: 1
; LDSByteSize: 2048 bytes/workgroup (compile time only)
; SGPRBlocks: 0
; VGPRBlocks: 2
; NumSGPRsForWavesPerEU: 39
; NumVGPRsForWavesPerEU: 24
; Occupancy: 16
; WaveLimiterHint : 0
; COMPUTE_PGM_RSRC2:SCRATCH_EN: 0
; COMPUTE_PGM_RSRC2:USER_SGPR: 2
; COMPUTE_PGM_RSRC2:TRAP_HANDLER: 0
; COMPUTE_PGM_RSRC2:TGID_X_EN: 1
; COMPUTE_PGM_RSRC2:TGID_Y_EN: 0
; COMPUTE_PGM_RSRC2:TGID_Z_EN: 1
; COMPUTE_PGM_RSRC2:TIDIG_COMP_CNT: 0
	.section	.text._ZL29rocblas_trtri_diagonal_kernelILi16EdPKPKdPKPdEv13rocblas_fill_17rocblas_diagonal_iT1_lillT2_lilli,"axG",@progbits,_ZL29rocblas_trtri_diagonal_kernelILi16EdPKPKdPKPdEv13rocblas_fill_17rocblas_diagonal_iT1_lillT2_lilli,comdat
	.globl	_ZL29rocblas_trtri_diagonal_kernelILi16EdPKPKdPKPdEv13rocblas_fill_17rocblas_diagonal_iT1_lillT2_lilli ; -- Begin function _ZL29rocblas_trtri_diagonal_kernelILi16EdPKPKdPKPdEv13rocblas_fill_17rocblas_diagonal_iT1_lillT2_lilli
	.p2align	8
	.type	_ZL29rocblas_trtri_diagonal_kernelILi16EdPKPKdPKPdEv13rocblas_fill_17rocblas_diagonal_iT1_lillT2_lilli,@function
_ZL29rocblas_trtri_diagonal_kernelILi16EdPKPKdPKPdEv13rocblas_fill_17rocblas_diagonal_iT1_lillT2_lilli: ; @_ZL29rocblas_trtri_diagonal_kernelILi16EdPKPKdPKPdEv13rocblas_fill_17rocblas_diagonal_iT1_lillT2_lilli
; %bb.0:
	s_load_b32 s33, s[0:1], 0x60
	s_lshr_b32 s20, ttmp7, 16
	s_wait_kmcnt 0x0
	s_cmp_ge_u32 s20, s33
	s_cbranch_scc1 .LBB22_81
; %bb.1:
	s_clause 0x5
	s_load_b96 s[4:6], s[0:1], 0x0
	s_load_b128 s[8:11], s[0:1], 0x10
	s_load_b32 s36, s[0:1], 0x20
	s_load_b96 s[16:18], s[0:1], 0x40
	s_load_b128 s[12:15], s[0:1], 0x30
	s_load_b64 s[0:1], s[0:1], 0x58
	s_mov_b32 s21, 0
	v_dual_mov_b32 v2, 0 :: v_dual_lshlrev_b32 v11, 3, v0
	s_mov_b32 s27, s21
	s_mov_b32 s23, s21
	;; [unrolled: 1-line block ×3, first 2 shown]
	s_wait_kmcnt 0x0
	s_ashr_i32 s2, s6, 31
	s_ashr_i32 s37, s36, 31
	s_lshr_b32 s2, s2, 27
	s_ashr_i32 s39, s18, 31
	s_add_co_i32 s2, s6, s2
	s_lshl_b64 s[28:29], s[36:37], 5
	s_ashr_i32 s2, s2, 5
	s_mov_b32 s38, s18
	s_cvt_f32_u32 s3, s2
	s_add_nc_u64 s[28:29], s[28:29], 32
	s_delay_alu instid0(SALU_CYCLE_2) | instskip(NEXT) | instid1(TRANS32_DEP_1)
	v_rcp_iflag_f32_e32 v1, s3
	v_readfirstlane_b32 s3, v1
	v_cvt_f32_ubyte0_e32 v1, v0
	s_mul_f32 s7, s3, 0x4f7ffffe
	s_mov_b32 s3, s21
	s_delay_alu instid0(SALU_CYCLE_2) | instskip(SKIP_1) | instid1(SALU_CYCLE_2)
	s_cvt_u32_f32 s19, s7
	s_sub_co_i32 s7, 0, s2
	s_mul_i32 s7, s7, s19
	s_delay_alu instid0(SALU_CYCLE_1) | instskip(SKIP_2) | instid1(SALU_CYCLE_1)
	s_mul_hi_u32 s22, s19, s7
	s_mov_b32 s7, s21
	s_add_co_i32 s19, s19, s22
	s_mul_hi_u32 s19, ttmp9, s19
	s_delay_alu instid0(SALU_CYCLE_1) | instskip(SKIP_2) | instid1(SALU_CYCLE_1)
	s_mul_i32 s22, s19, s2
	s_add_co_i32 s24, s19, 1
	s_sub_co_i32 s22, ttmp9, s22
	s_sub_co_i32 s26, s22, s2
	s_cmp_ge_u32 s22, s2
	s_cselect_b32 s19, s24, s19
	s_cselect_b32 s22, s26, s22
	s_add_co_i32 s24, s19, 1
	s_cmp_ge_u32 s22, s2
	s_cselect_b32 s26, s24, s19
	s_lshl_b64 s[30:31], s[38:39], 5
	s_mul_i32 s2, s26, s2
	s_mul_u64 s[40:41], s[0:1], s[26:27]
	s_wait_alu 0xfffe
	s_sub_co_i32 s2, ttmp9, s2
	s_mul_u64 s[34:35], s[12:13], s[26:27]
	s_wait_alu 0xfffe
	s_lshl_b32 s0, s2, 4
	s_add_nc_u64 s[12:13], s[30:31], 32
	s_sub_co_i32 s1, s6, s0
	s_mul_u64 s[28:29], s[28:29], s[2:3]
	s_min_u32 s22, s1, 16
	s_cmp_lg_u32 s6, s0
	v_cvt_f32_ubyte0_e32 v7, s22
	s_cselect_b32 s44, -1, 0
	s_lshl_b32 s19, s22, 1
	s_mul_u64 s[42:43], s[12:13], s[2:3]
	v_cmp_gt_u32_e64 s2, s19, v0
	v_rcp_iflag_f32_e32 v8, v7
	v_mov_b32_e32 v3, s22
	v_cmp_gt_u32_e32 vcc_lo, s22, v0
	s_cmp_lg_u32 s4, 0x7a
	s_wait_alu 0xf1ff
	v_cndmask_b32_e64 v4, 0, 0x1800, s2
	s_mul_u64 s[26:27], s[22:23], s[36:37]
	s_mul_u64 s[12:13], s[22:23], s[38:39]
	s_cselect_b32 s45, -1, 0
	s_cmp_lg_u32 s5, 0x84
	s_add_nc_u64 s[4:5], s[26:27], s[22:23]
	v_mul_f32_e32 v8, v1, v8
	v_cndmask_b32_e64 v9, s19, v3, s2
	s_add_nc_u64 s[48:49], s[12:13], s[22:23]
	s_cselect_b32 s46, -1, 0
	s_add_co_i32 s6, s22, -1
	v_trunc_f32_e32 v8, v8
	v_cndmask_b32_e64 v12, v9, 0, vcc_lo
	s_lshl_b32 s24, s22, 3
	v_cndmask_b32_e64 v19, v4, 0x1000, vcc_lo
	v_cndmask_b32_e64 v4, s5, 0, vcc_lo
	v_fma_f32 v9, -v8, v7, v1
	v_cndmask_b32_e64 v3, s4, 0, vcc_lo
	v_cndmask_b32_e64 v6, s49, 0, vcc_lo
	;; [unrolled: 1-line block ×3, first 2 shown]
	s_lshl_b64 s[4:5], s[6:7], 3
	v_cvt_u32_f32_e32 v8, v8
	v_cmp_ge_f32_e64 vcc_lo, |v9|, v7
	s_lshl_b64 s[26:27], s[34:35], 3
	s_lshl_b64 s[28:29], s[28:29], 3
	s_wait_alu 0xfffe
	s_add_nc_u64 s[4:5], s[24:25], s[4:5]
	v_cmp_le_u32_e64 s3, s19, v0
	s_mul_i32 s19, s22, s6
	s_add_nc_u64 s[50:51], s[26:27], s[28:29]
	s_wait_alu 0xfffe
	s_mul_u64 s[4:5], s[4:5], s[36:37]
	v_lshl_add_u32 v10, s19, 3, v11
	v_lshlrev_b32_e32 v13, 3, v12
	s_wait_alu 0xfffd
	v_add_co_ci_u32_e64 v9, null, 0, v8, vcc_lo
	s_lshl_b64 s[10:11], s[10:11], 3
	s_wait_alu 0xfffe
	s_add_nc_u64 s[4:5], s[50:51], s[4:5]
	s_mul_u64 s[6:7], s[36:37], s[6:7]
	s_wait_alu 0xfffe
	s_add_nc_u64 s[4:5], s[4:5], s[10:11]
	v_mul_lo_u16 v15, v9, s22
	s_wait_alu 0xfffe
	v_add_co_u32 v8, s4, s4, v11
	v_sub_nc_u32_e32 v10, v10, v13
	v_and_b32_e32 v22, 0xffff, v9
	s_lshl_b64 s[6:7], s[6:7], 3
	v_lshlrev_b64_e32 v[3:4], 3, v[3:4]
	s_wait_alu 0xf1ff
	v_add_co_ci_u32_e64 v14, null, s5, 0, s4
	s_mul_i32 s0, s22, 3
	s_mul_i32 s1, s22, s22
	s_lshl_b64 s[30:31], s[36:37], 3
	s_add_nc_u64 s[36:37], s[50:51], s[6:7]
	v_cmp_gt_u32_e64 s0, s0, v0
	v_cmp_gt_u32_e64 s1, s1, v0
	v_sub_nc_u32_e32 v1, v0, v12
	v_sub_nc_u16 v15, v0, v15
	v_sub_co_u32 v0, vcc_lo, v8, v13
	v_add_nc_u32_e32 v25, v19, v10
	v_cmp_gt_u16_e64 s6, 16, v9
	v_mad_co_i64_i32 v[9:10], null, v22, s18, 0
	s_add_nc_u64 s[18:19], s[10:11], s[36:37]
	s_wait_alu 0xfffd
	v_subrev_co_ci_u32_e64 v21, null, 0, v14, vcc_lo
	s_wait_alu 0xfffe
	v_add_co_u32 v18, vcc_lo, s18, v3
	s_wait_alu 0xfffd
	v_add_co_ci_u32_e64 v27, null, s19, v4, vcc_lo
	s_add_nc_u64 s[18:19], s[10:11], s[50:51]
	v_add_co_u32 v18, vcc_lo, v18, v11
	s_wait_alu 0xfffd
	v_add_co_ci_u32_e64 v28, null, 0, v27, vcc_lo
	v_and_b32_e32 v23, 0xffff, v15
	s_delay_alu instid0(VALU_DEP_3) | instskip(SKIP_1) | instid1(VALU_DEP_3)
	v_sub_co_u32 v27, vcc_lo, v18, v13
	s_wait_alu 0xfffd
	v_subrev_co_ci_u32_e64 v28, null, 0, v28, vcc_lo
	s_wait_alu 0xfffe
	v_add_co_u32 v3, vcc_lo, s18, v3
	v_add_lshl_u32 v12, v12, s22, 3
	v_lshlrev_b32_e32 v26, 3, v23
	s_wait_alu 0xfffd
	v_add_co_ci_u32_e64 v4, null, s19, v4, vcc_lo
	v_add_co_u32 v3, vcc_lo, v3, v11
	v_sub_nc_u32_e32 v12, v12, v11
	s_wait_alu 0xfffd
	s_delay_alu instid0(VALU_DEP_3) | instskip(NEXT) | instid1(VALU_DEP_3)
	v_add_co_ci_u32_e64 v4, null, 0, v4, vcc_lo
	v_sub_co_u32 v30, vcc_lo, v3, v13
	v_sub_nc_u32_e32 v3, s24, v26
	v_add3_u32 v29, v12, v19, -8
	v_add_nc_u32_e32 v12, s24, v11
	s_add_nc_u64 s[18:19], s[22:23], -1
	v_mul_u32_u24_e32 v15, s22, v22
	v_mul_lo_u32 v3, s22, v3
	s_wait_alu 0xfffe
	s_mul_u64 s[18:19], s[18:19], s[38:39]
	v_sub_nc_u32_e32 v12, v12, v13
	s_wait_alu 0xfffe
	s_lshl_b64 s[36:37], s[18:19], 3
	s_lshl_b64 s[18:19], s[40:41], 3
	s_wait_alu 0xfffd
	v_subrev_co_ci_u32_e64 v31, null, 0, v4, vcc_lo
	v_add_nc_u32_e32 v33, v19, v12
	v_lshlrev_b32_e32 v12, 3, v15
	v_sub_nc_u32_e32 v15, v3, v26
	s_wait_alu 0xfffe
	s_add_nc_u64 s[40:41], s[36:37], s[18:19]
	s_lshl_b64 s[36:37], s[42:43], 3
	v_lshlrev_b64_e32 v[3:4], 3, v[5:6]
	s_add_nc_u64 s[40:41], s[40:41], s[36:37]
	s_lshl_b64 s[16:17], s[16:17], 3
	s_add_co_i32 s47, s22, 1
	s_add_nc_u64 s[40:41], s[16:17], s[40:41]
	v_add_nc_u32_e32 v7, s22, v1
	v_add_co_u32 v5, vcc_lo, s40, v3
	s_wait_alu 0xfffd
	v_add_co_ci_u32_e64 v6, null, s41, v4, vcc_lo
	v_mul_i32_i24_e32 v16, s47, v1
	s_delay_alu instid0(VALU_DEP_3)
	v_add_co_u32 v5, vcc_lo, v5, v11
	v_ashrrev_i32_e32 v8, 31, v7
	s_wait_alu 0xfffd
	v_add_co_ci_u32_e64 v6, null, 0, v6, vcc_lo
	v_lshl_add_u32 v24, v16, 3, v19
	v_lshlrev_b32_e32 v14, 7, v22
	v_add_nc_u32_e32 v16, s22, v23
	v_add_nc_u32_e32 v17, 0x800, v26
	v_sub_co_u32 v43, vcc_lo, v5, v13
	s_movk_i32 s7, 0x88
	s_wait_alu 0xfffd
	v_subrev_co_ci_u32_e64 v44, null, 0, v6, vcc_lo
	v_lshlrev_b64_e32 v[5:6], 3, v[7:8]
	v_lshlrev_b64_e32 v[7:8], 3, v[9:10]
	;; [unrolled: 1-line block ×3, first 2 shown]
	v_lshl_add_u32 v20, v1, 3, v19
	v_cmp_gt_i32_e64 s4, s22, v1
	v_cmp_lt_i32_e64 s5, -1, v1
	v_or_b32_e32 v32, 8, v19
	v_sub_nc_u32_e32 v34, 0x1ff8, v14
	v_add_nc_u32_e32 v35, -1, v22
	v_mad_u32_u24 v36, v22, s7, 0x1000
	v_add_nc_u32_e32 v37, v14, v26
	v_add_nc_u32_e32 v38, -1, v23
	v_add3_u32 v39, v12, v26, 0x800
	v_add_nc_u32_e32 v40, 0xff8, v15
	v_add_nc_u32_e32 v41, 0x800, v12
	;; [unrolled: 1-line block ×5, first 2 shown]
	v_lshlrev_b32_e32 v47, 3, v23
	v_lshlrev_b32_e32 v48, 3, v16
	s_lshl_b64 s[38:39], s[38:39], 3
	s_sub_co_i32 s48, 0, s24
	s_sub_nc_u64 s[34:35], 0, s[30:31]
	s_add_co_i32 s23, s24, 8
	s_sub_nc_u64 s[40:41], 0, s[38:39]
	s_branch .LBB22_4
.LBB22_2:                               ;   in Loop: Header=BB22_4 Depth=1
	s_wait_alu 0xfffe
	s_or_b32 exec_lo, exec_lo, s25
.LBB22_3:                               ;   in Loop: Header=BB22_4 Depth=1
	s_add_co_i32 s20, s20, 0x10000
	s_delay_alu instid0(SALU_CYCLE_1)
	s_cmp_lt_u32 s20, s33
	s_cbranch_scc0 .LBB22_81
.LBB22_4:                               ; =>This Loop Header: Depth=1
                                        ;     Child Loop BB22_9 Depth 2
                                        ;     Child Loop BB22_13 Depth 2
	;; [unrolled: 1-line block ×5, first 2 shown]
                                        ;       Child Loop BB22_41 Depth 3
                                        ;     Child Loop BB22_48 Depth 2
                                        ;     Child Loop BB22_55 Depth 2
	;; [unrolled: 1-line block ×6, first 2 shown]
	s_and_not1_b32 vcc_lo, exec_lo, s44
	s_wait_alu 0xfffe
	s_cbranch_vccnz .LBB22_3
; %bb.5:                                ;   in Loop: Header=BB22_4 Depth=1
	s_lshl_b64 s[42:43], s[20:21], 3
	s_wait_alu 0xfffe
	s_add_nc_u64 s[50:51], s[8:9], s[42:43]
	s_add_nc_u64 s[42:43], s[14:15], s[42:43]
	s_clause 0x1
	global_load_b64 v[13:14], v2, s[50:51]
	global_load_b64 v[11:12], v2, s[42:43]
	s_and_saveexec_b32 s7, s3
	s_wait_alu 0xfffe
	s_xor_b32 s7, exec_lo, s7
	s_cbranch_execz .LBB22_15
; %bb.6:                                ;   in Loop: Header=BB22_4 Depth=1
	s_and_saveexec_b32 s25, s0
	s_cbranch_execz .LBB22_14
; %bb.7:                                ;   in Loop: Header=BB22_4 Depth=1
	s_and_not1_b32 vcc_lo, exec_lo, s45
	s_mov_b32 s42, -1
	s_wait_alu 0xfffe
	s_cbranch_vccnz .LBB22_11
; %bb.8:                                ;   in Loop: Header=BB22_4 Depth=1
	s_wait_loadcnt 0x1
	v_add_co_u32 v15, vcc_lo, v13, v0
	s_wait_alu 0xfffd
	v_add_co_ci_u32_e64 v16, null, v14, v21, vcc_lo
	v_mov_b32_e32 v17, v25
	s_mov_b32 s42, s47
.LBB22_9:                               ;   Parent Loop BB22_4 Depth=1
                                        ; =>  This Inner Loop Header: Depth=2
	flat_load_b64 v[49:50], v[15:16]
	v_add_co_u32 v15, vcc_lo, v15, s34
	s_wait_alu 0xfffd
	v_add_co_ci_u32_e64 v16, null, s35, v16, vcc_lo
	s_wait_alu 0xfffe
	s_add_co_i32 s42, s42, -1
	s_wait_alu 0xfffe
	s_cmp_gt_u32 s42, 1
	s_wait_loadcnt_dscnt 0x0
	ds_store_b64 v17, v[49:50]
	v_add_nc_u32_e32 v17, s48, v17
	s_cbranch_scc1 .LBB22_9
; %bb.10:                               ;   in Loop: Header=BB22_4 Depth=1
	s_mov_b32 s42, 0
.LBB22_11:                              ;   in Loop: Header=BB22_4 Depth=1
	s_wait_alu 0xfffe
	s_and_b32 vcc_lo, exec_lo, s42
	s_wait_alu 0xfffe
	s_cbranch_vccz .LBB22_14
; %bb.12:                               ;   in Loop: Header=BB22_4 Depth=1
	s_wait_loadcnt 0x1
	v_add_co_u32 v13, vcc_lo, v13, s10
	s_wait_alu 0xfffd
	v_add_co_ci_u32_e64 v14, null, s11, v14, vcc_lo
	v_mov_b32_e32 v15, v20
	s_delay_alu instid0(VALU_DEP_3) | instskip(SKIP_1) | instid1(VALU_DEP_3)
	v_add_co_u32 v13, vcc_lo, v13, s28
	s_wait_alu 0xfffd
	v_add_co_ci_u32_e64 v14, null, s29, v14, vcc_lo
	s_mov_b32 s42, s22
	v_add_co_u32 v13, vcc_lo, v13, s26
	s_wait_alu 0xfffd
	v_add_co_ci_u32_e64 v14, null, s27, v14, vcc_lo
	s_delay_alu instid0(VALU_DEP_2) | instskip(SKIP_1) | instid1(VALU_DEP_2)
	v_add_co_u32 v13, vcc_lo, v13, v5
	s_wait_alu 0xfffd
	v_add_co_ci_u32_e64 v14, null, v14, v6, vcc_lo
.LBB22_13:                              ;   Parent Loop BB22_4 Depth=1
                                        ; =>  This Inner Loop Header: Depth=2
	flat_load_b64 v[16:17], v[13:14]
	v_add_co_u32 v13, vcc_lo, v13, s30
	s_wait_alu 0xfffd
	v_add_co_ci_u32_e64 v14, null, s31, v14, vcc_lo
	s_wait_alu 0xfffe
	s_add_co_i32 s42, s42, -1
	s_wait_alu 0xfffe
	s_cmp_eq_u32 s42, 0
	s_wait_loadcnt_dscnt 0x0
	ds_store_b64 v15, v[16:17]
	v_add_nc_u32_e32 v15, s24, v15
	s_cbranch_scc0 .LBB22_13
.LBB22_14:                              ;   in Loop: Header=BB22_4 Depth=1
	s_wait_alu 0xfffe
	s_or_b32 exec_lo, exec_lo, s25
                                        ; implicit-def: $vgpr13_vgpr14
.LBB22_15:                              ;   in Loop: Header=BB22_4 Depth=1
	s_wait_alu 0xfffe
	s_and_not1_saveexec_b32 s7, s7
	s_cbranch_execz .LBB22_27
; %bb.16:                               ;   in Loop: Header=BB22_4 Depth=1
	s_and_b32 vcc_lo, exec_lo, s45
	s_mov_b32 s25, -1
	s_wait_alu 0xfffe
	s_cbranch_vccz .LBB22_22
; %bb.17:                               ;   in Loop: Header=BB22_4 Depth=1
	s_wait_loadcnt 0x1
	v_add_co_u32 v15, vcc_lo, v13, v27
	s_wait_alu 0xfffd
	v_add_co_ci_u32_e64 v16, null, v14, v28, vcc_lo
	v_mov_b32_e32 v49, v29
	s_mov_b32 s25, s22
	s_branch .LBB22_19
.LBB22_18:                              ;   in Loop: Header=BB22_19 Depth=2
	s_or_b32 exec_lo, exec_lo, s42
	v_add_co_u32 v15, vcc_lo, v15, s34
	s_wait_loadcnt_dscnt 0x0
	ds_store_b64 v49, v[17:18]
	s_wait_alu 0xfffd
	v_add_co_ci_u32_e64 v16, null, s35, v16, vcc_lo
	v_add_nc_u32_e32 v49, s24, v49
	s_cmp_lt_i32 s25, 1
	s_cbranch_scc1 .LBB22_21
.LBB22_19:                              ;   Parent Loop BB22_4 Depth=1
                                        ; =>  This Inner Loop Header: Depth=2
	v_mov_b32_e32 v17, 0
	v_mov_b32_e32 v18, 0
	s_wait_alu 0xfffe
	s_add_co_i32 s25, s25, -1
	s_mov_b32 s42, exec_lo
	s_wait_alu 0xfffe
	v_cmpx_ge_i32_e64 s25, v1
	s_cbranch_execz .LBB22_18
; %bb.20:                               ;   in Loop: Header=BB22_19 Depth=2
	flat_load_b64 v[17:18], v[15:16]
	s_branch .LBB22_18
.LBB22_21:                              ;   in Loop: Header=BB22_4 Depth=1
	s_mov_b32 s25, 0
.LBB22_22:                              ;   in Loop: Header=BB22_4 Depth=1
	s_wait_alu 0xfffe
	s_and_b32 vcc_lo, exec_lo, s25
	s_wait_alu 0xfffe
	s_cbranch_vccz .LBB22_27
; %bb.23:                               ;   in Loop: Header=BB22_4 Depth=1
	s_wait_loadcnt 0x1
	v_add_co_u32 v13, vcc_lo, v13, v30
	s_wait_alu 0xfffd
	v_add_co_ci_u32_e64 v14, null, v14, v31, vcc_lo
	v_mov_b32_e32 v17, v20
	s_mov_b32 s25, 0
	s_branch .LBB22_25
.LBB22_24:                              ;   in Loop: Header=BB22_25 Depth=2
	s_or_b32 exec_lo, exec_lo, s42
	v_add_co_u32 v13, vcc_lo, v13, s30
	s_wait_loadcnt_dscnt 0x0
	ds_store_b64 v17, v[15:16]
	s_wait_alu 0xfffd
	v_add_co_ci_u32_e64 v14, null, s31, v14, vcc_lo
	v_add_nc_u32_e32 v17, s24, v17
	s_add_co_i32 s25, s25, 1
	s_wait_alu 0xfffe
	s_cmp_eq_u32 s22, s25
	s_cbranch_scc1 .LBB22_27
.LBB22_25:                              ;   Parent Loop BB22_4 Depth=1
                                        ; =>  This Inner Loop Header: Depth=2
	v_mov_b32_e32 v15, 0
	v_mov_b32_e32 v16, 0
	s_mov_b32 s42, exec_lo
	s_wait_alu 0xfffe
	v_cmpx_le_i32_e64 s25, v1
	s_cbranch_execz .LBB22_24
; %bb.26:                               ;   in Loop: Header=BB22_25 Depth=2
	flat_load_b64 v[15:16], v[13:14]
	s_branch .LBB22_24
.LBB22_27:                              ;   in Loop: Header=BB22_4 Depth=1
	s_wait_alu 0xfffe
	s_or_b32 exec_lo, exec_lo, s7
	s_wait_loadcnt_dscnt 0x0
	s_barrier_signal -1
	s_barrier_wait -1
	global_inv scope:SCOPE_SE
	s_and_saveexec_b32 s7, s2
	s_cbranch_execz .LBB22_33
; %bb.28:                               ;   in Loop: Header=BB22_4 Depth=1
	v_mov_b32_e32 v15, 0
	v_mov_b32_e32 v16, 0x3ff00000
	s_and_not1_b32 vcc_lo, exec_lo, s46
	s_wait_alu 0xfffe
	s_cbranch_vccnz .LBB22_32
; %bb.29:                               ;   in Loop: Header=BB22_4 Depth=1
	ds_load_b64 v[13:14], v24
	v_mov_b32_e32 v15, 0
	v_mov_b32_e32 v16, 0x3ff00000
	s_mov_b32 s25, exec_lo
	s_wait_dscnt 0x0
	v_cmpx_neq_f64_e32 0, v[13:14]
	s_cbranch_execz .LBB22_31
; %bb.30:                               ;   in Loop: Header=BB22_4 Depth=1
	v_div_scale_f64 v[15:16], null, v[13:14], v[13:14], 1.0
	s_delay_alu instid0(VALU_DEP_1) | instskip(NEXT) | instid1(TRANS32_DEP_1)
	v_rcp_f64_e32 v[17:18], v[15:16]
	v_fma_f64 v[49:50], -v[15:16], v[17:18], 1.0
	s_delay_alu instid0(VALU_DEP_1) | instskip(NEXT) | instid1(VALU_DEP_1)
	v_fma_f64 v[17:18], v[17:18], v[49:50], v[17:18]
	v_fma_f64 v[49:50], -v[15:16], v[17:18], 1.0
	s_delay_alu instid0(VALU_DEP_1) | instskip(SKIP_1) | instid1(VALU_DEP_1)
	v_fma_f64 v[17:18], v[17:18], v[49:50], v[17:18]
	v_div_scale_f64 v[49:50], vcc_lo, 1.0, v[13:14], 1.0
	v_mul_f64_e32 v[51:52], v[49:50], v[17:18]
	s_delay_alu instid0(VALU_DEP_1) | instskip(SKIP_1) | instid1(VALU_DEP_1)
	v_fma_f64 v[15:16], -v[15:16], v[51:52], v[49:50]
	s_wait_alu 0xfffd
	v_div_fmas_f64 v[15:16], v[15:16], v[17:18], v[51:52]
	s_delay_alu instid0(VALU_DEP_1)
	v_div_fixup_f64 v[15:16], v[15:16], v[13:14], 1.0
.LBB22_31:                              ;   in Loop: Header=BB22_4 Depth=1
	s_wait_alu 0xfffe
	s_or_b32 exec_lo, exec_lo, s25
.LBB22_32:                              ;   in Loop: Header=BB22_4 Depth=1
	ds_store_b64 v24, v[15:16]
.LBB22_33:                              ;   in Loop: Header=BB22_4 Depth=1
	s_wait_alu 0xfffe
	s_or_b32 exec_lo, exec_lo, s7
	s_wait_loadcnt_dscnt 0x0
	s_barrier_signal -1
	s_barrier_wait -1
	global_inv scope:SCOPE_SE
	s_and_saveexec_b32 s7, s2
	s_cbranch_execz .LBB22_45
; %bb.34:                               ;   in Loop: Header=BB22_4 Depth=1
	v_dual_mov_b32 v15, v33 :: v_dual_mov_b32 v16, v32
	s_mov_b32 s25, 0
	s_branch .LBB22_36
.LBB22_35:                              ;   in Loop: Header=BB22_36 Depth=2
	v_add_nc_u32_e32 v16, s23, v16
	v_add_nc_u32_e32 v15, s24, v15
	s_cmp_eq_u32 s25, s22
	s_cbranch_scc1 .LBB22_45
.LBB22_36:                              ;   Parent Loop BB22_4 Depth=1
                                        ; =>  This Loop Header: Depth=2
                                        ;       Child Loop BB22_41 Depth 3
	v_mov_b32_e32 v13, 0
	v_mov_b32_e32 v14, 0
	s_wait_alu 0xfffe
	s_mul_i32 s42, s25, s22
	s_mov_b32 s43, exec_lo
	v_cmpx_lt_i32_e64 s25, v1
	s_cbranch_execz .LBB22_38
; %bb.37:                               ;   in Loop: Header=BB22_36 Depth=2
	s_wait_alu 0xfffe
	s_lshl_b32 s49, s42, 3
	s_lshl_b32 s50, s25, 3
	s_wait_alu 0xfffe
	v_add_nc_u32_e32 v13, s49, v20
	v_add3_u32 v17, s49, s50, v19
	ds_load_b64 v[13:14], v13
	ds_load_b64 v[17:18], v17
	s_wait_dscnt 0x0
	v_fma_f64 v[13:14], v[13:14], v[17:18], 0
.LBB22_38:                              ;   in Loop: Header=BB22_36 Depth=2
	s_wait_alu 0xfffe
	s_or_b32 exec_lo, exec_lo, s43
	s_add_co_i32 s25, s25, 1
	s_wait_alu 0xfffe
	s_cmp_ge_u32 s25, s22
	s_cbranch_scc1 .LBB22_35
; %bb.39:                               ;   in Loop: Header=BB22_36 Depth=2
	v_lshl_add_u32 v17, s42, 3, v20
	v_dual_mov_b32 v18, v15 :: v_dual_mov_b32 v49, v16
	s_mov_b32 s42, s25
	s_branch .LBB22_41
.LBB22_40:                              ;   in Loop: Header=BB22_41 Depth=3
	s_wait_alu 0xfffe
	s_or_b32 exec_lo, exec_lo, s43
	v_add_nc_u32_e32 v49, 8, v49
	v_add_nc_u32_e32 v18, s24, v18
	s_add_co_i32 s42, s42, 1
	s_wait_alu 0xfffe
	s_cmp_eq_u32 s22, s42
	s_cbranch_scc1 .LBB22_35
.LBB22_41:                              ;   Parent Loop BB22_4 Depth=1
                                        ;     Parent Loop BB22_36 Depth=2
                                        ; =>    This Inner Loop Header: Depth=3
	s_mov_b32 s43, exec_lo
	s_wait_alu 0xfffe
	v_cmpx_eq_u32_e64 s42, v1
	s_cbranch_execz .LBB22_43
; %bb.42:                               ;   in Loop: Header=BB22_41 Depth=3
	s_delay_alu instid0(VALU_DEP_4)
	v_add_f64_e64 v[50:51], -v[13:14], 0
	ds_load_b64 v[52:53], v24
	s_wait_dscnt 0x0
	v_mul_f64_e32 v[50:51], v[50:51], v[52:53]
	ds_store_b64 v17, v[50:51]
.LBB22_43:                              ;   in Loop: Header=BB22_41 Depth=3
	s_or_b32 exec_lo, exec_lo, s43
	s_delay_alu instid0(SALU_CYCLE_1)
	s_mov_b32 s43, exec_lo
	v_cmpx_lt_i32_e64 s42, v1
	s_cbranch_execz .LBB22_40
; %bb.44:                               ;   in Loop: Header=BB22_41 Depth=3
	ds_load_b64 v[50:51], v18
	ds_load_b64 v[52:53], v49
	s_wait_dscnt 0x0
	v_fma_f64 v[13:14], v[50:51], v[52:53], v[13:14]
	s_branch .LBB22_40
.LBB22_45:                              ;   in Loop: Header=BB22_4 Depth=1
	s_wait_alu 0xfffe
	s_or_b32 exec_lo, exec_lo, s7
	s_delay_alu instid0(SALU_CYCLE_1)
	s_and_b32 vcc_lo, exec_lo, s45
	s_mov_b32 s7, -1
	s_wait_loadcnt_dscnt 0x0
	s_barrier_signal -1
	s_barrier_wait -1
	global_inv scope:SCOPE_SE
	s_wait_alu 0xfffe
	s_cbranch_vccz .LBB22_51
; %bb.46:                               ;   in Loop: Header=BB22_4 Depth=1
	s_and_saveexec_b32 s7, s1
	s_cbranch_execz .LBB22_50
; %bb.47:                               ;   in Loop: Header=BB22_4 Depth=1
	v_dual_mov_b32 v13, 0 :: v_dual_mov_b32 v16, v34
	v_dual_mov_b32 v14, 0 :: v_dual_mov_b32 v15, v26
	s_mov_b32 s42, -1
	s_mov_b32 s25, 0
.LBB22_48:                              ;   Parent Loop BB22_4 Depth=1
                                        ; =>  This Inner Loop Header: Depth=2
	ds_load_b64 v[17:18], v15
	ds_load_b64 v[49:50], v16
	s_wait_alu 0xfffe
	s_add_co_i32 s42, s42, 1
	v_add_nc_u32_e32 v16, -8, v16
	s_wait_alu 0xfffe
	v_cmp_ge_u32_e32 vcc_lo, s42, v22
	v_add_nc_u32_e32 v15, 0x80, v15
	s_or_b32 s25, vcc_lo, s25
	s_wait_dscnt 0x0
	v_fma_f64 v[13:14], v[17:18], v[49:50], v[13:14]
	s_wait_alu 0xfffe
	s_and_not1_b32 exec_lo, exec_lo, s25
	s_cbranch_execnz .LBB22_48
; %bb.49:                               ;   in Loop: Header=BB22_4 Depth=1
	s_or_b32 exec_lo, exec_lo, s25
	ds_store_b64 v46, v[13:14]
.LBB22_50:                              ;   in Loop: Header=BB22_4 Depth=1
	s_wait_alu 0xfffe
	s_or_b32 exec_lo, exec_lo, s7
	s_mov_b32 s7, 0
.LBB22_51:                              ;   in Loop: Header=BB22_4 Depth=1
	s_wait_alu 0xfffe
	s_and_not1_b32 vcc_lo, exec_lo, s7
	s_wait_alu 0xfffe
	s_cbranch_vccnz .LBB22_59
; %bb.52:                               ;   in Loop: Header=BB22_4 Depth=1
	s_and_saveexec_b32 s7, s1
	s_cbranch_execz .LBB22_58
; %bb.53:                               ;   in Loop: Header=BB22_4 Depth=1
	v_mov_b32_e32 v13, 0
	v_mov_b32_e32 v14, 0
	s_and_saveexec_b32 s25, s6
	s_cbranch_execz .LBB22_57
; %bb.54:                               ;   in Loop: Header=BB22_4 Depth=1
	v_dual_mov_b32 v13, 0 :: v_dual_mov_b32 v16, v36
	v_dual_mov_b32 v14, 0 :: v_dual_mov_b32 v15, v37
	v_mov_b32_e32 v17, v35
	s_mov_b32 s42, 0
.LBB22_55:                              ;   Parent Loop BB22_4 Depth=1
                                        ; =>  This Inner Loop Header: Depth=2
	ds_load_b64 v[49:50], v15
	ds_load_b64 v[51:52], v16
	v_add_nc_u32_e32 v17, 1, v17
	v_add_nc_u32_e32 v16, 8, v16
	v_add_nc_u32_e32 v15, 0x80, v15
	s_delay_alu instid0(VALU_DEP_3)
	v_cmp_lt_u32_e32 vcc_lo, 14, v17
	s_wait_alu 0xfffe
	s_or_b32 s42, vcc_lo, s42
	s_wait_dscnt 0x0
	v_fma_f64 v[13:14], v[49:50], v[51:52], v[13:14]
	s_wait_alu 0xfffe
	s_and_not1_b32 exec_lo, exec_lo, s42
	s_cbranch_execnz .LBB22_55
; %bb.56:                               ;   in Loop: Header=BB22_4 Depth=1
	s_or_b32 exec_lo, exec_lo, s42
.LBB22_57:                              ;   in Loop: Header=BB22_4 Depth=1
	s_wait_alu 0xfffe
	s_or_b32 exec_lo, exec_lo, s25
	ds_store_b64 v46, v[13:14]
.LBB22_58:                              ;   in Loop: Header=BB22_4 Depth=1
	s_wait_alu 0xfffe
	s_or_b32 exec_lo, exec_lo, s7
.LBB22_59:                              ;   in Loop: Header=BB22_4 Depth=1
	v_add_co_u32 v13, vcc_lo, v11, s16
	s_wait_alu 0xfffd
	v_add_co_ci_u32_e64 v14, null, s17, v12, vcc_lo
	s_mov_b32 s7, -1
	v_add_co_u32 v13, vcc_lo, v13, s36
	s_wait_alu 0xfffd
	v_add_co_ci_u32_e64 v14, null, s37, v14, vcc_lo
	s_wait_loadcnt_dscnt 0x0
	s_delay_alu instid0(VALU_DEP_2) | instskip(SKIP_1) | instid1(VALU_DEP_2)
	v_add_co_u32 v15, vcc_lo, v13, s18
	s_wait_alu 0xfffd
	v_add_co_ci_u32_e64 v16, null, s19, v14, vcc_lo
	s_and_b32 vcc_lo, exec_lo, s45
	s_barrier_signal -1
	s_barrier_wait -1
	global_inv scope:SCOPE_SE
	s_wait_alu 0xfffe
	s_cbranch_vccnz .LBB22_62
; %bb.60:                               ;   in Loop: Header=BB22_4 Depth=1
	s_and_not1_b32 vcc_lo, exec_lo, s7
	s_wait_alu 0xfffe
	s_cbranch_vccz .LBB22_67
.LBB22_61:                              ;   in Loop: Header=BB22_4 Depth=1
	s_and_saveexec_b32 s25, s2
	s_cbranch_execz .LBB22_2
	s_branch .LBB22_72
.LBB22_62:                              ;   in Loop: Header=BB22_4 Depth=1
	s_and_saveexec_b32 s7, s1
	s_cbranch_execz .LBB22_66
; %bb.63:                               ;   in Loop: Header=BB22_4 Depth=1
	v_dual_mov_b32 v13, 0 :: v_dual_mov_b32 v18, v39
	v_dual_mov_b32 v14, 0 :: v_dual_mov_b32 v17, v40
	v_mov_b32_e32 v49, v38
	s_mov_b32 s25, 0
.LBB22_64:                              ;   Parent Loop BB22_4 Depth=1
                                        ; =>  This Inner Loop Header: Depth=2
	ds_load_b64 v[50:51], v17
	ds_load_b64 v[52:53], v18
	v_add_nc_u32_e32 v49, 1, v49
	v_add_nc_u32_e32 v18, 8, v18
	;; [unrolled: 1-line block ×3, first 2 shown]
	s_delay_alu instid0(VALU_DEP_3)
	v_cmp_lt_u32_e32 vcc_lo, 14, v49
	s_wait_alu 0xfffe
	s_or_b32 s25, vcc_lo, s25
	s_wait_dscnt 0x0
	v_fma_f64 v[13:14], -v[50:51], v[52:53], v[13:14]
	s_wait_alu 0xfffe
	s_and_not1_b32 exec_lo, exec_lo, s25
	s_cbranch_execnz .LBB22_64
; %bb.65:                               ;   in Loop: Header=BB22_4 Depth=1
	s_or_b32 exec_lo, exec_lo, s25
	s_lshl_b64 s[42:43], s[12:13], 3
	s_wait_alu 0xfffe
	v_add_co_u32 v17, vcc_lo, v15, s42
	s_wait_alu 0xfffd
	v_add_co_ci_u32_e64 v18, null, s43, v16, vcc_lo
	s_delay_alu instid0(VALU_DEP_2) | instskip(SKIP_1) | instid1(VALU_DEP_2)
	v_add_co_u32 v17, vcc_lo, v17, v47
	s_wait_alu 0xfffd
	v_add_co_ci_u32_e64 v18, null, 0, v18, vcc_lo
	s_delay_alu instid0(VALU_DEP_2) | instskip(SKIP_1) | instid1(VALU_DEP_2)
	v_add_co_u32 v17, vcc_lo, v17, v7
	s_wait_alu 0xfffd
	v_add_co_ci_u32_e64 v18, null, v18, v8, vcc_lo
	flat_store_b64 v[17:18], v[13:14]
.LBB22_66:                              ;   in Loop: Header=BB22_4 Depth=1
	s_wait_alu 0xfffe
	s_or_b32 exec_lo, exec_lo, s7
	s_cbranch_execnz .LBB22_61
.LBB22_67:                              ;   in Loop: Header=BB22_4 Depth=1
	s_and_saveexec_b32 s7, s1
	s_cbranch_execz .LBB22_71
; %bb.68:                               ;   in Loop: Header=BB22_4 Depth=1
	v_dual_mov_b32 v13, 0 :: v_dual_mov_b32 v18, v41
	v_dual_mov_b32 v14, 0 :: v_dual_mov_b32 v17, v42
	s_mov_b32 s42, -1
	s_mov_b32 s25, 0
.LBB22_69:                              ;   Parent Loop BB22_4 Depth=1
                                        ; =>  This Inner Loop Header: Depth=2
	ds_load_b64 v[49:50], v17
	ds_load_b64 v[51:52], v18
	s_wait_alu 0xfffe
	s_add_co_i32 s42, s42, 1
	v_add_nc_u32_e32 v18, 8, v18
	s_wait_alu 0xfffe
	v_cmp_ge_u32_e32 vcc_lo, s42, v23
	v_add_nc_u32_e32 v17, s24, v17
	s_or_b32 s25, vcc_lo, s25
	s_wait_dscnt 0x0
	v_fma_f64 v[13:14], -v[49:50], v[51:52], v[13:14]
	s_wait_alu 0xfffe
	s_and_not1_b32 exec_lo, exec_lo, s25
	s_cbranch_execnz .LBB22_69
; %bb.70:                               ;   in Loop: Header=BB22_4 Depth=1
	s_or_b32 exec_lo, exec_lo, s25
	v_add_co_u32 v17, vcc_lo, v15, v7
	s_wait_alu 0xfffd
	v_add_co_ci_u32_e64 v18, null, v16, v8, vcc_lo
	s_delay_alu instid0(VALU_DEP_2) | instskip(SKIP_1) | instid1(VALU_DEP_2)
	v_add_co_u32 v17, vcc_lo, v17, v48
	s_wait_alu 0xfffd
	v_add_co_ci_u32_e64 v18, null, 0, v18, vcc_lo
	flat_store_b64 v[17:18], v[13:14]
.LBB22_71:                              ;   in Loop: Header=BB22_4 Depth=1
	s_wait_alu 0xfffe
	s_or_b32 exec_lo, exec_lo, s7
	s_and_saveexec_b32 s25, s2
	s_cbranch_execz .LBB22_2
.LBB22_72:                              ;   in Loop: Header=BB22_4 Depth=1
	s_and_b32 vcc_lo, exec_lo, s45
	s_mov_b32 s7, -1
	s_wait_alu 0xfffe
	s_cbranch_vccz .LBB22_77
; %bb.73:                               ;   in Loop: Header=BB22_4 Depth=1
	s_and_saveexec_b32 s42, s4
	s_cbranch_execz .LBB22_76
; %bb.74:                               ;   in Loop: Header=BB22_4 Depth=1
	v_add_co_u32 v11, vcc_lo, v11, v43
	s_wait_alu 0xfffd
	v_add_co_ci_u32_e64 v12, null, v12, v44, vcc_lo
	v_mov_b32_e32 v13, v29
	s_mov_b32 s43, 0
	s_mov_b32 s49, s22
.LBB22_75:                              ;   Parent Loop BB22_4 Depth=1
                                        ; =>  This Inner Loop Header: Depth=2
	ds_load_b64 v[17:18], v13
	s_wait_alu 0xfffe
	s_add_co_i32 s49, s49, -1
	v_add_nc_u32_e32 v13, s24, v13
	s_wait_alu 0xfffe
	v_cmp_le_i32_e32 vcc_lo, s49, v1
	s_or_b32 s43, vcc_lo, s43
	s_wait_dscnt 0x0
	flat_store_b64 v[11:12], v[17:18]
	v_add_co_u32 v11, s7, v11, s40
	s_wait_alu 0xf1ff
	v_add_co_ci_u32_e64 v12, null, s41, v12, s7
	s_wait_alu 0xfffe
	s_and_not1_b32 exec_lo, exec_lo, s43
	s_cbranch_execnz .LBB22_75
.LBB22_76:                              ;   in Loop: Header=BB22_4 Depth=1
	s_wait_alu 0xfffe
	s_or_b32 exec_lo, exec_lo, s42
	s_mov_b32 s7, 0
.LBB22_77:                              ;   in Loop: Header=BB22_4 Depth=1
	s_wait_alu 0xfffe
	s_and_not1_b32 vcc_lo, exec_lo, s7
	s_wait_alu 0xfffe
	s_cbranch_vccnz .LBB22_2
; %bb.78:                               ;   in Loop: Header=BB22_4 Depth=1
	s_and_b32 exec_lo, exec_lo, s5
	s_cbranch_execz .LBB22_2
; %bb.79:                               ;   in Loop: Header=BB22_4 Depth=1
	v_add_co_u32 v11, vcc_lo, v15, v3
	s_wait_alu 0xfffd
	v_add_co_ci_u32_e64 v12, null, v16, v4, vcc_lo
	v_dual_mov_b32 v13, v20 :: v_dual_mov_b32 v14, v45
	s_delay_alu instid0(VALU_DEP_3) | instskip(SKIP_1) | instid1(VALU_DEP_3)
	v_add_co_u32 v11, vcc_lo, v11, v9
	s_wait_alu 0xfffd
	v_add_co_ci_u32_e64 v12, null, v12, v10, vcc_lo
	s_mov_b32 s42, 0
.LBB22_80:                              ;   Parent Loop BB22_4 Depth=1
                                        ; =>  This Inner Loop Header: Depth=2
	ds_load_b64 v[15:16], v13
	v_add_nc_u32_e32 v14, -1, v14
	v_add_nc_u32_e32 v13, s24, v13
	s_delay_alu instid0(VALU_DEP_2)
	v_cmp_eq_u32_e32 vcc_lo, 0, v14
	s_wait_alu 0xfffe
	s_or_b32 s42, vcc_lo, s42
	s_wait_dscnt 0x0
	flat_store_b64 v[11:12], v[15:16]
	v_add_co_u32 v11, s7, v11, s38
	s_wait_alu 0xf1ff
	v_add_co_ci_u32_e64 v12, null, s39, v12, s7
	s_wait_alu 0xfffe
	s_and_not1_b32 exec_lo, exec_lo, s42
	s_cbranch_execnz .LBB22_80
	s_branch .LBB22_2
.LBB22_81:
	s_endpgm
	.section	.rodata,"a",@progbits
	.p2align	6, 0x0
	.amdhsa_kernel _ZL29rocblas_trtri_diagonal_kernelILi16EdPKPKdPKPdEv13rocblas_fill_17rocblas_diagonal_iT1_lillT2_lilli
		.amdhsa_group_segment_fixed_size 8192
		.amdhsa_private_segment_fixed_size 0
		.amdhsa_kernarg_size 100
		.amdhsa_user_sgpr_count 2
		.amdhsa_user_sgpr_dispatch_ptr 0
		.amdhsa_user_sgpr_queue_ptr 0
		.amdhsa_user_sgpr_kernarg_segment_ptr 1
		.amdhsa_user_sgpr_dispatch_id 0
		.amdhsa_user_sgpr_private_segment_size 0
		.amdhsa_wavefront_size32 1
		.amdhsa_uses_dynamic_stack 0
		.amdhsa_enable_private_segment 0
		.amdhsa_system_sgpr_workgroup_id_x 1
		.amdhsa_system_sgpr_workgroup_id_y 0
		.amdhsa_system_sgpr_workgroup_id_z 1
		.amdhsa_system_sgpr_workgroup_info 0
		.amdhsa_system_vgpr_workitem_id 0
		.amdhsa_next_free_vgpr 54
		.amdhsa_next_free_sgpr 52
		.amdhsa_reserve_vcc 1
		.amdhsa_float_round_mode_32 0
		.amdhsa_float_round_mode_16_64 0
		.amdhsa_float_denorm_mode_32 3
		.amdhsa_float_denorm_mode_16_64 3
		.amdhsa_fp16_overflow 0
		.amdhsa_workgroup_processor_mode 1
		.amdhsa_memory_ordered 1
		.amdhsa_forward_progress 1
		.amdhsa_inst_pref_size 30
		.amdhsa_round_robin_scheduling 0
		.amdhsa_exception_fp_ieee_invalid_op 0
		.amdhsa_exception_fp_denorm_src 0
		.amdhsa_exception_fp_ieee_div_zero 0
		.amdhsa_exception_fp_ieee_overflow 0
		.amdhsa_exception_fp_ieee_underflow 0
		.amdhsa_exception_fp_ieee_inexact 0
		.amdhsa_exception_int_div_zero 0
	.end_amdhsa_kernel
	.section	.text._ZL29rocblas_trtri_diagonal_kernelILi16EdPKPKdPKPdEv13rocblas_fill_17rocblas_diagonal_iT1_lillT2_lilli,"axG",@progbits,_ZL29rocblas_trtri_diagonal_kernelILi16EdPKPKdPKPdEv13rocblas_fill_17rocblas_diagonal_iT1_lillT2_lilli,comdat
.Lfunc_end22:
	.size	_ZL29rocblas_trtri_diagonal_kernelILi16EdPKPKdPKPdEv13rocblas_fill_17rocblas_diagonal_iT1_lillT2_lilli, .Lfunc_end22-_ZL29rocblas_trtri_diagonal_kernelILi16EdPKPKdPKPdEv13rocblas_fill_17rocblas_diagonal_iT1_lillT2_lilli
                                        ; -- End function
	.set _ZL29rocblas_trtri_diagonal_kernelILi16EdPKPKdPKPdEv13rocblas_fill_17rocblas_diagonal_iT1_lillT2_lilli.num_vgpr, 54
	.set _ZL29rocblas_trtri_diagonal_kernelILi16EdPKPKdPKPdEv13rocblas_fill_17rocblas_diagonal_iT1_lillT2_lilli.num_agpr, 0
	.set _ZL29rocblas_trtri_diagonal_kernelILi16EdPKPKdPKPdEv13rocblas_fill_17rocblas_diagonal_iT1_lillT2_lilli.numbered_sgpr, 52
	.set _ZL29rocblas_trtri_diagonal_kernelILi16EdPKPKdPKPdEv13rocblas_fill_17rocblas_diagonal_iT1_lillT2_lilli.num_named_barrier, 0
	.set _ZL29rocblas_trtri_diagonal_kernelILi16EdPKPKdPKPdEv13rocblas_fill_17rocblas_diagonal_iT1_lillT2_lilli.private_seg_size, 0
	.set _ZL29rocblas_trtri_diagonal_kernelILi16EdPKPKdPKPdEv13rocblas_fill_17rocblas_diagonal_iT1_lillT2_lilli.uses_vcc, 1
	.set _ZL29rocblas_trtri_diagonal_kernelILi16EdPKPKdPKPdEv13rocblas_fill_17rocblas_diagonal_iT1_lillT2_lilli.uses_flat_scratch, 0
	.set _ZL29rocblas_trtri_diagonal_kernelILi16EdPKPKdPKPdEv13rocblas_fill_17rocblas_diagonal_iT1_lillT2_lilli.has_dyn_sized_stack, 0
	.set _ZL29rocblas_trtri_diagonal_kernelILi16EdPKPKdPKPdEv13rocblas_fill_17rocblas_diagonal_iT1_lillT2_lilli.has_recursion, 0
	.set _ZL29rocblas_trtri_diagonal_kernelILi16EdPKPKdPKPdEv13rocblas_fill_17rocblas_diagonal_iT1_lillT2_lilli.has_indirect_call, 0
	.section	.AMDGPU.csdata,"",@progbits
; Kernel info:
; codeLenInByte = 3720
; TotalNumSgprs: 54
; NumVgprs: 54
; ScratchSize: 0
; MemoryBound: 0
; FloatMode: 240
; IeeeMode: 1
; LDSByteSize: 8192 bytes/workgroup (compile time only)
; SGPRBlocks: 0
; VGPRBlocks: 6
; NumSGPRsForWavesPerEU: 54
; NumVGPRsForWavesPerEU: 54
; Occupancy: 16
; WaveLimiterHint : 1
; COMPUTE_PGM_RSRC2:SCRATCH_EN: 0
; COMPUTE_PGM_RSRC2:USER_SGPR: 2
; COMPUTE_PGM_RSRC2:TRAP_HANDLER: 0
; COMPUTE_PGM_RSRC2:TGID_X_EN: 1
; COMPUTE_PGM_RSRC2:TGID_Y_EN: 0
; COMPUTE_PGM_RSRC2:TGID_Z_EN: 1
; COMPUTE_PGM_RSRC2:TIDIG_COMP_CNT: 0
	.section	.text._ZL30rocblas_trtri_remainder_kernelILi16EdPKPKdPKPdEv13rocblas_fill_17rocblas_diagonal_iT1_lillT2_lilli,"axG",@progbits,_ZL30rocblas_trtri_remainder_kernelILi16EdPKPKdPKPdEv13rocblas_fill_17rocblas_diagonal_iT1_lillT2_lilli,comdat
	.globl	_ZL30rocblas_trtri_remainder_kernelILi16EdPKPKdPKPdEv13rocblas_fill_17rocblas_diagonal_iT1_lillT2_lilli ; -- Begin function _ZL30rocblas_trtri_remainder_kernelILi16EdPKPKdPKPdEv13rocblas_fill_17rocblas_diagonal_iT1_lillT2_lilli
	.p2align	8
	.type	_ZL30rocblas_trtri_remainder_kernelILi16EdPKPKdPKPdEv13rocblas_fill_17rocblas_diagonal_iT1_lillT2_lilli,@function
_ZL30rocblas_trtri_remainder_kernelILi16EdPKPKdPKPdEv13rocblas_fill_17rocblas_diagonal_iT1_lillT2_lilli: ; @_ZL30rocblas_trtri_remainder_kernelILi16EdPKPKdPKPdEv13rocblas_fill_17rocblas_diagonal_iT1_lillT2_lilli
; %bb.0:
	s_load_b32 s15, s[0:1], 0x60
	s_lshr_b32 s2, ttmp7, 16
	s_wait_kmcnt 0x0
	s_cmp_ge_u32 s2, s15
	s_cbranch_scc1 .LBB23_38
; %bb.1:
	s_clause 0x5
	s_load_b32 s22, s[0:1], 0x20
	s_load_b96 s[16:18], s[0:1], 0x40
	s_load_b128 s[4:7], s[0:1], 0x30
	s_load_b64 s[24:25], s[0:1], 0x58
	s_load_b96 s[12:14], s[0:1], 0x0
	s_load_b128 s[8:11], s[0:1], 0x10
	s_mov_b32 s3, 0
	s_mov_b32 s20, ttmp9
	s_mov_b32 s21, s3
	s_mov_b32 s27, s3
	v_dual_mov_b32 v7, 0 :: v_dual_lshlrev_b32 v8, 3, v0
	v_add_nc_u32_e32 v13, 1, v0
	v_lshlrev_b32_e32 v17, 3, v0
	s_wait_kmcnt 0x0
	s_ashr_i32 s23, s22, 31
	s_ashr_i32 s35, s18, 31
	s_mul_u64 s[4:5], s[4:5], s[20:21]
	s_mov_b32 s34, s18
	s_cmp_gt_i32 s14, 0
	s_mul_u64 s[20:21], s[24:25], s[20:21]
	s_cselect_b32 s28, -1, 0
	s_cmp_lg_u32 s12, 0x7a
	v_mul_lo_u32 v1, v0, s14
	s_cselect_b32 s29, -1, 0
	s_add_co_i32 s26, s14, -1
	s_cmp_lg_u32 s13, 0x84
	s_mul_u64 s[12:13], s[22:23], s[26:27]
	s_cselect_b32 s30, -1, 0
	s_lshl_b64 s[4:5], s[4:5], 3
	s_lshl_b64 s[12:13], s[12:13], 3
	;; [unrolled: 1-line block ×3, first 2 shown]
	s_add_nc_u64 s[12:13], s[4:5], s[12:13]
	s_lshl_b64 s[20:21], s[20:21], 3
	s_add_nc_u64 s[18:19], s[12:13], s[10:11]
	s_lshl_b64 s[12:13], s[22:23], 3
	s_mul_u64 s[22:23], s[34:35], s[26:27]
	s_lshl_b64 s[16:17], s[16:17], 3
	s_lshl_b64 s[22:23], s[22:23], 3
	v_sub_nc_u32_e32 v2, s26, v0
	s_add_nc_u64 s[22:23], s[20:21], s[22:23]
	v_add_co_u32 v11, s1, s18, v8
	s_add_nc_u64 s[22:23], s[22:23], s[16:17]
	s_lshl_b32 s31, s14, 3
	v_add_co_ci_u32_e64 v12, null, s19, 0, s1
	v_add_co_u32 v15, s1, s22, v8
	v_cmp_gt_u32_e64 s0, s14, v0
	v_add_lshl_u32 v9, v1, v0, 3
	v_lshlrev_b32_e32 v10, 3, v2
	v_add_nc_u32_e32 v14, s31, v8
	s_wait_alu 0xf1ff
	v_add_co_ci_u32_e64 v16, null, s23, 0, s1
	s_lshl_b64 s[22:23], s[34:35], 3
	s_sub_nc_u64 s[18:19], 0, s[12:13]
	s_add_co_i32 s33, s31, 8
	s_wait_alu 0xfffe
	s_sub_nc_u64 s[24:25], 0, s[22:23]
	s_branch .LBB23_4
.LBB23_2:                               ;   in Loop: Header=BB23_4 Depth=1
	s_wait_alu 0xfffe
	s_or_b32 exec_lo, exec_lo, s26
.LBB23_3:                               ;   in Loop: Header=BB23_4 Depth=1
	s_add_co_i32 s2, s2, 0x10000
	s_delay_alu instid0(SALU_CYCLE_1)
	s_cmp_lt_u32 s2, s15
	s_cbranch_scc0 .LBB23_38
.LBB23_4:                               ; =>This Loop Header: Depth=1
                                        ;     Child Loop BB23_8 Depth 2
                                        ;     Child Loop BB23_12 Depth 2
	;; [unrolled: 1-line block ×3, first 2 shown]
                                        ;       Child Loop BB23_26 Depth 3
                                        ;     Child Loop BB23_33 Depth 2
                                        ;     Child Loop BB23_37 Depth 2
	s_and_not1_b32 vcc_lo, exec_lo, s28
	s_wait_alu 0xfffe
	s_cbranch_vccnz .LBB23_3
; %bb.5:                                ;   in Loop: Header=BB23_4 Depth=1
	s_lshl_b64 s[26:27], s[2:3], 3
	s_wait_alu 0xfffe
	s_add_nc_u64 s[34:35], s[6:7], s[26:27]
	global_load_b64 v[1:2], v7, s[34:35]
	s_and_saveexec_b32 s34, s0
	s_cbranch_execz .LBB23_13
; %bb.6:                                ;   in Loop: Header=BB23_4 Depth=1
	s_add_nc_u64 s[26:27], s[8:9], s[26:27]
	s_and_not1_b32 vcc_lo, exec_lo, s29
	global_load_b64 v[3:4], v7, s[26:27]
	s_mov_b32 s1, -1
	s_wait_alu 0xfffe
	s_cbranch_vccnz .LBB23_10
; %bb.7:                                ;   in Loop: Header=BB23_4 Depth=1
	s_wait_loadcnt 0x0
	v_add_co_u32 v5, vcc_lo, v3, v11
	s_wait_alu 0xfffd
	v_add_co_ci_u32_e64 v6, null, v4, v12, vcc_lo
	v_mov_b32_e32 v18, v10
	s_mov_b32 s26, 0
	s_mov_b32 s27, s14
.LBB23_8:                               ;   Parent Loop BB23_4 Depth=1
                                        ; =>  This Inner Loop Header: Depth=2
	flat_load_b64 v[19:20], v[5:6]
	s_wait_alu 0xfffe
	s_add_co_i32 s27, s27, -1
	v_add_co_u32 v5, vcc_lo, v5, s18
	s_wait_alu 0xfffe
	v_cmp_le_u32_e64 s1, s27, v0
	s_wait_alu 0xfffd
	v_add_co_ci_u32_e64 v6, null, s19, v6, vcc_lo
	s_or_b32 s26, s1, s26
	s_wait_loadcnt_dscnt 0x0
	ds_store_b64 v18, v[19:20]
	v_add_nc_u32_e32 v18, s31, v18
	s_wait_alu 0xfffe
	s_and_not1_b32 exec_lo, exec_lo, s26
	s_cbranch_execnz .LBB23_8
; %bb.9:                                ;   in Loop: Header=BB23_4 Depth=1
	s_or_b32 exec_lo, exec_lo, s26
	s_mov_b32 s1, 0
.LBB23_10:                              ;   in Loop: Header=BB23_4 Depth=1
	s_wait_alu 0xfffe
	s_and_b32 vcc_lo, exec_lo, s1
	s_wait_alu 0xfffe
	s_cbranch_vccz .LBB23_13
; %bb.11:                               ;   in Loop: Header=BB23_4 Depth=1
	s_wait_loadcnt 0x0
	v_add_co_u32 v3, vcc_lo, v3, s10
	s_wait_alu 0xfffd
	v_add_co_ci_u32_e64 v4, null, s11, v4, vcc_lo
	v_dual_mov_b32 v5, v8 :: v_dual_mov_b32 v6, v13
	s_delay_alu instid0(VALU_DEP_3) | instskip(SKIP_1) | instid1(VALU_DEP_3)
	v_add_co_u32 v3, vcc_lo, v3, s4
	s_wait_alu 0xfffd
	v_add_co_ci_u32_e64 v4, null, s5, v4, vcc_lo
	s_mov_b32 s26, 0
	v_add_co_u32 v3, vcc_lo, v3, v17
	s_wait_alu 0xfffd
	v_add_co_ci_u32_e64 v4, null, 0, v4, vcc_lo
.LBB23_12:                              ;   Parent Loop BB23_4 Depth=1
                                        ; =>  This Inner Loop Header: Depth=2
	flat_load_b64 v[18:19], v[3:4]
	v_add_nc_u32_e32 v6, -1, v6
	v_add_co_u32 v3, vcc_lo, v3, s12
	s_wait_alu 0xfffd
	v_add_co_ci_u32_e64 v4, null, s13, v4, vcc_lo
	s_delay_alu instid0(VALU_DEP_3)
	v_cmp_eq_u32_e64 s1, 0, v6
	s_wait_alu 0xfffe
	s_or_b32 s26, s1, s26
	s_wait_loadcnt_dscnt 0x0
	ds_store_b64 v5, v[18:19]
	v_add_nc_u32_e32 v5, s31, v5
	s_wait_alu 0xfffe
	s_and_not1_b32 exec_lo, exec_lo, s26
	s_cbranch_execnz .LBB23_12
.LBB23_13:                              ;   in Loop: Header=BB23_4 Depth=1
	s_wait_alu 0xfffe
	s_or_b32 exec_lo, exec_lo, s34
	s_wait_loadcnt_dscnt 0x0
	s_barrier_signal -1
	s_barrier_wait -1
	global_inv scope:SCOPE_SE
	s_and_saveexec_b32 s1, s0
	s_cbranch_execz .LBB23_19
; %bb.14:                               ;   in Loop: Header=BB23_4 Depth=1
	v_mov_b32_e32 v5, 0
	v_mov_b32_e32 v6, 0x3ff00000
	s_and_not1_b32 vcc_lo, exec_lo, s30
	s_wait_alu 0xfffe
	s_cbranch_vccnz .LBB23_18
; %bb.15:                               ;   in Loop: Header=BB23_4 Depth=1
	ds_load_b64 v[3:4], v9
	v_mov_b32_e32 v5, 0
	v_mov_b32_e32 v6, 0x3ff00000
	s_mov_b32 s26, exec_lo
	s_wait_dscnt 0x0
	v_cmpx_neq_f64_e32 0, v[3:4]
	s_cbranch_execz .LBB23_17
; %bb.16:                               ;   in Loop: Header=BB23_4 Depth=1
	v_div_scale_f64 v[5:6], null, v[3:4], v[3:4], 1.0
	s_delay_alu instid0(VALU_DEP_1) | instskip(NEXT) | instid1(TRANS32_DEP_1)
	v_rcp_f64_e32 v[18:19], v[5:6]
	v_fma_f64 v[20:21], -v[5:6], v[18:19], 1.0
	s_delay_alu instid0(VALU_DEP_1) | instskip(NEXT) | instid1(VALU_DEP_1)
	v_fma_f64 v[18:19], v[18:19], v[20:21], v[18:19]
	v_fma_f64 v[20:21], -v[5:6], v[18:19], 1.0
	s_delay_alu instid0(VALU_DEP_1) | instskip(SKIP_1) | instid1(VALU_DEP_1)
	v_fma_f64 v[18:19], v[18:19], v[20:21], v[18:19]
	v_div_scale_f64 v[20:21], vcc_lo, 1.0, v[3:4], 1.0
	v_mul_f64_e32 v[22:23], v[20:21], v[18:19]
	s_delay_alu instid0(VALU_DEP_1) | instskip(SKIP_1) | instid1(VALU_DEP_1)
	v_fma_f64 v[5:6], -v[5:6], v[22:23], v[20:21]
	s_wait_alu 0xfffd
	v_div_fmas_f64 v[5:6], v[5:6], v[18:19], v[22:23]
	s_delay_alu instid0(VALU_DEP_1)
	v_div_fixup_f64 v[5:6], v[5:6], v[3:4], 1.0
.LBB23_17:                              ;   in Loop: Header=BB23_4 Depth=1
	s_wait_alu 0xfffe
	s_or_b32 exec_lo, exec_lo, s26
.LBB23_18:                              ;   in Loop: Header=BB23_4 Depth=1
	ds_store_b64 v9, v[5:6]
.LBB23_19:                              ;   in Loop: Header=BB23_4 Depth=1
	s_wait_alu 0xfffe
	s_or_b32 exec_lo, exec_lo, s1
	v_mov_b32_e32 v5, v14
	s_mov_b32 s1, 0
	s_mov_b32 s26, 8
	s_wait_loadcnt_dscnt 0x0
	s_barrier_signal -1
	s_barrier_wait -1
	global_inv scope:SCOPE_SE
	s_branch .LBB23_21
.LBB23_20:                              ;   in Loop: Header=BB23_21 Depth=2
	v_add_nc_u32_e32 v5, s31, v5
	s_add_co_i32 s26, s26, s33
	s_cmp_eq_u32 s1, s14
	s_wait_loadcnt 0x0
	s_barrier_signal -1
	s_barrier_wait -1
	global_inv scope:SCOPE_SE
	s_cbranch_scc1 .LBB23_30
.LBB23_21:                              ;   Parent Loop BB23_4 Depth=1
                                        ; =>  This Loop Header: Depth=2
                                        ;       Child Loop BB23_26 Depth 3
	v_mov_b32_e32 v3, 0
	v_mov_b32_e32 v4, 0
	s_wait_alu 0xfffe
	s_mul_i32 s27, s1, s14
	s_mov_b32 s34, exec_lo
	v_cmpx_lt_u32_e64 s1, v0
	s_cbranch_execz .LBB23_23
; %bb.22:                               ;   in Loop: Header=BB23_21 Depth=2
	s_lshl_b32 s35, s1, 3
	s_wait_alu 0xfffe
	s_lshl_b32 s36, s27, 3
	s_wait_alu 0xfffe
	s_add_co_i32 s35, s35, s36
	s_wait_alu 0xfffe
	v_dual_mov_b32 v6, s35 :: v_dual_add_nc_u32 v3, s36, v8
	ds_load_b64 v[3:4], v3
	ds_load_b64 v[18:19], v6
	s_wait_dscnt 0x0
	v_fma_f64 v[3:4], v[3:4], v[18:19], 0
.LBB23_23:                              ;   in Loop: Header=BB23_21 Depth=2
	s_wait_alu 0xfffe
	s_or_b32 exec_lo, exec_lo, s34
	s_add_co_i32 s1, s1, 1
	s_wait_loadcnt 0x0
	s_wait_alu 0xfffe
	s_cmp_ge_i32 s1, s14
	s_barrier_signal -1
	s_barrier_wait -1
	global_inv scope:SCOPE_SE
	s_cbranch_scc1 .LBB23_20
; %bb.24:                               ;   in Loop: Header=BB23_21 Depth=2
	v_lshl_add_u32 v6, s27, 3, v8
	v_mov_b32_e32 v18, v5
	s_mov_b32 s27, s26
	s_mov_b32 s34, s1
	s_branch .LBB23_26
.LBB23_25:                              ;   in Loop: Header=BB23_26 Depth=3
	s_wait_alu 0xfffe
	s_or_b32 exec_lo, exec_lo, s35
	v_add_nc_u32_e32 v18, s31, v18
	s_add_co_i32 s34, s34, 1
	s_add_co_i32 s27, s27, 8
	s_wait_alu 0xfffe
	s_cmp_eq_u32 s14, s34
	s_wait_loadcnt 0x0
	s_barrier_signal -1
	s_barrier_wait -1
	global_inv scope:SCOPE_SE
	s_cbranch_scc1 .LBB23_20
.LBB23_26:                              ;   Parent Loop BB23_4 Depth=1
                                        ;     Parent Loop BB23_21 Depth=2
                                        ; =>    This Inner Loop Header: Depth=3
	s_mov_b32 s35, exec_lo
	s_wait_alu 0xfffe
	v_cmpx_eq_u32_e64 s34, v0
	s_cbranch_execz .LBB23_28
; %bb.27:                               ;   in Loop: Header=BB23_26 Depth=3
	v_add_f64_e64 v[19:20], -v[3:4], 0
	ds_load_b64 v[21:22], v9
	s_wait_dscnt 0x0
	v_mul_f64_e32 v[19:20], v[19:20], v[21:22]
	ds_store_b64 v6, v[19:20]
.LBB23_28:                              ;   in Loop: Header=BB23_26 Depth=3
	s_or_b32 exec_lo, exec_lo, s35
	s_delay_alu instid0(SALU_CYCLE_1)
	s_mov_b32 s35, exec_lo
	s_wait_loadcnt_dscnt 0x0
	s_barrier_signal -1
	s_barrier_wait -1
	global_inv scope:SCOPE_SE
	v_cmpx_lt_u32_e64 s34, v0
	s_cbranch_execz .LBB23_25
; %bb.29:                               ;   in Loop: Header=BB23_26 Depth=3
	v_mov_b32_e32 v21, s27
	ds_load_b64 v[19:20], v18
	ds_load_b64 v[21:22], v21
	s_wait_dscnt 0x0
	v_fma_f64 v[3:4], v[19:20], v[21:22], v[3:4]
	s_branch .LBB23_25
.LBB23_30:                              ;   in Loop: Header=BB23_4 Depth=1
	s_and_saveexec_b32 s26, s0
	s_cbranch_execz .LBB23_2
; %bb.31:                               ;   in Loop: Header=BB23_4 Depth=1
	s_and_not1_b32 vcc_lo, exec_lo, s29
	s_mov_b32 s1, -1
	s_wait_alu 0xfffe
	s_cbranch_vccnz .LBB23_35
; %bb.32:                               ;   in Loop: Header=BB23_4 Depth=1
	v_add_co_u32 v3, vcc_lo, v1, v15
	s_wait_alu 0xfffd
	v_add_co_ci_u32_e64 v4, null, v2, v16, vcc_lo
	v_mov_b32_e32 v5, v10
	s_mov_b32 s27, 0
	s_mov_b32 s34, s14
.LBB23_33:                              ;   Parent Loop BB23_4 Depth=1
                                        ; =>  This Inner Loop Header: Depth=2
	ds_load_b64 v[18:19], v5
	s_wait_alu 0xfffe
	s_add_co_i32 s34, s34, -1
	v_add_nc_u32_e32 v5, s31, v5
	s_wait_alu 0xfffe
	v_cmp_le_u32_e32 vcc_lo, s34, v0
	s_or_b32 s27, vcc_lo, s27
	s_wait_dscnt 0x0
	flat_store_b64 v[3:4], v[18:19]
	v_add_co_u32 v3, s1, v3, s24
	s_wait_alu 0xf1ff
	v_add_co_ci_u32_e64 v4, null, s25, v4, s1
	s_wait_alu 0xfffe
	s_and_not1_b32 exec_lo, exec_lo, s27
	s_cbranch_execnz .LBB23_33
; %bb.34:                               ;   in Loop: Header=BB23_4 Depth=1
	s_or_b32 exec_lo, exec_lo, s27
	s_mov_b32 s1, 0
.LBB23_35:                              ;   in Loop: Header=BB23_4 Depth=1
	s_wait_alu 0xfffe
	s_and_b32 vcc_lo, exec_lo, s1
	s_wait_alu 0xfffe
	s_cbranch_vccz .LBB23_2
; %bb.36:                               ;   in Loop: Header=BB23_4 Depth=1
	v_add_co_u32 v1, vcc_lo, v1, s16
	s_wait_alu 0xfffd
	v_add_co_ci_u32_e64 v2, null, s17, v2, vcc_lo
	v_dual_mov_b32 v3, v8 :: v_dual_mov_b32 v4, v13
	s_delay_alu instid0(VALU_DEP_3) | instskip(SKIP_1) | instid1(VALU_DEP_3)
	v_add_co_u32 v1, vcc_lo, v1, s20
	s_wait_alu 0xfffd
	v_add_co_ci_u32_e64 v2, null, s21, v2, vcc_lo
	s_mov_b32 s27, 0
	v_add_co_u32 v1, vcc_lo, v1, v17
	s_wait_alu 0xfffd
	v_add_co_ci_u32_e64 v2, null, 0, v2, vcc_lo
.LBB23_37:                              ;   Parent Loop BB23_4 Depth=1
                                        ; =>  This Inner Loop Header: Depth=2
	ds_load_b64 v[5:6], v3
	v_add_nc_u32_e32 v4, -1, v4
	v_add_nc_u32_e32 v3, s31, v3
	s_delay_alu instid0(VALU_DEP_2)
	v_cmp_eq_u32_e32 vcc_lo, 0, v4
	s_wait_alu 0xfffe
	s_or_b32 s27, vcc_lo, s27
	s_wait_dscnt 0x0
	flat_store_b64 v[1:2], v[5:6]
	v_add_co_u32 v1, s1, v1, s22
	s_wait_alu 0xf1ff
	v_add_co_ci_u32_e64 v2, null, s23, v2, s1
	s_wait_alu 0xfffe
	s_and_not1_b32 exec_lo, exec_lo, s27
	s_cbranch_execnz .LBB23_37
	s_branch .LBB23_2
.LBB23_38:
	s_endpgm
	.section	.rodata,"a",@progbits
	.p2align	6, 0x0
	.amdhsa_kernel _ZL30rocblas_trtri_remainder_kernelILi16EdPKPKdPKPdEv13rocblas_fill_17rocblas_diagonal_iT1_lillT2_lilli
		.amdhsa_group_segment_fixed_size 8192
		.amdhsa_private_segment_fixed_size 0
		.amdhsa_kernarg_size 100
		.amdhsa_user_sgpr_count 2
		.amdhsa_user_sgpr_dispatch_ptr 0
		.amdhsa_user_sgpr_queue_ptr 0
		.amdhsa_user_sgpr_kernarg_segment_ptr 1
		.amdhsa_user_sgpr_dispatch_id 0
		.amdhsa_user_sgpr_private_segment_size 0
		.amdhsa_wavefront_size32 1
		.amdhsa_uses_dynamic_stack 0
		.amdhsa_enable_private_segment 0
		.amdhsa_system_sgpr_workgroup_id_x 1
		.amdhsa_system_sgpr_workgroup_id_y 0
		.amdhsa_system_sgpr_workgroup_id_z 1
		.amdhsa_system_sgpr_workgroup_info 0
		.amdhsa_system_vgpr_workitem_id 0
		.amdhsa_next_free_vgpr 24
		.amdhsa_next_free_sgpr 37
		.amdhsa_reserve_vcc 1
		.amdhsa_float_round_mode_32 0
		.amdhsa_float_round_mode_16_64 0
		.amdhsa_float_denorm_mode_32 3
		.amdhsa_float_denorm_mode_16_64 3
		.amdhsa_fp16_overflow 0
		.amdhsa_workgroup_processor_mode 1
		.amdhsa_memory_ordered 1
		.amdhsa_forward_progress 1
		.amdhsa_inst_pref_size 14
		.amdhsa_round_robin_scheduling 0
		.amdhsa_exception_fp_ieee_invalid_op 0
		.amdhsa_exception_fp_denorm_src 0
		.amdhsa_exception_fp_ieee_div_zero 0
		.amdhsa_exception_fp_ieee_overflow 0
		.amdhsa_exception_fp_ieee_underflow 0
		.amdhsa_exception_fp_ieee_inexact 0
		.amdhsa_exception_int_div_zero 0
	.end_amdhsa_kernel
	.section	.text._ZL30rocblas_trtri_remainder_kernelILi16EdPKPKdPKPdEv13rocblas_fill_17rocblas_diagonal_iT1_lillT2_lilli,"axG",@progbits,_ZL30rocblas_trtri_remainder_kernelILi16EdPKPKdPKPdEv13rocblas_fill_17rocblas_diagonal_iT1_lillT2_lilli,comdat
.Lfunc_end23:
	.size	_ZL30rocblas_trtri_remainder_kernelILi16EdPKPKdPKPdEv13rocblas_fill_17rocblas_diagonal_iT1_lillT2_lilli, .Lfunc_end23-_ZL30rocblas_trtri_remainder_kernelILi16EdPKPKdPKPdEv13rocblas_fill_17rocblas_diagonal_iT1_lillT2_lilli
                                        ; -- End function
	.set _ZL30rocblas_trtri_remainder_kernelILi16EdPKPKdPKPdEv13rocblas_fill_17rocblas_diagonal_iT1_lillT2_lilli.num_vgpr, 24
	.set _ZL30rocblas_trtri_remainder_kernelILi16EdPKPKdPKPdEv13rocblas_fill_17rocblas_diagonal_iT1_lillT2_lilli.num_agpr, 0
	.set _ZL30rocblas_trtri_remainder_kernelILi16EdPKPKdPKPdEv13rocblas_fill_17rocblas_diagonal_iT1_lillT2_lilli.numbered_sgpr, 37
	.set _ZL30rocblas_trtri_remainder_kernelILi16EdPKPKdPKPdEv13rocblas_fill_17rocblas_diagonal_iT1_lillT2_lilli.num_named_barrier, 0
	.set _ZL30rocblas_trtri_remainder_kernelILi16EdPKPKdPKPdEv13rocblas_fill_17rocblas_diagonal_iT1_lillT2_lilli.private_seg_size, 0
	.set _ZL30rocblas_trtri_remainder_kernelILi16EdPKPKdPKPdEv13rocblas_fill_17rocblas_diagonal_iT1_lillT2_lilli.uses_vcc, 1
	.set _ZL30rocblas_trtri_remainder_kernelILi16EdPKPKdPKPdEv13rocblas_fill_17rocblas_diagonal_iT1_lillT2_lilli.uses_flat_scratch, 0
	.set _ZL30rocblas_trtri_remainder_kernelILi16EdPKPKdPKPdEv13rocblas_fill_17rocblas_diagonal_iT1_lillT2_lilli.has_dyn_sized_stack, 0
	.set _ZL30rocblas_trtri_remainder_kernelILi16EdPKPKdPKPdEv13rocblas_fill_17rocblas_diagonal_iT1_lillT2_lilli.has_recursion, 0
	.set _ZL30rocblas_trtri_remainder_kernelILi16EdPKPKdPKPdEv13rocblas_fill_17rocblas_diagonal_iT1_lillT2_lilli.has_indirect_call, 0
	.section	.AMDGPU.csdata,"",@progbits
; Kernel info:
; codeLenInByte = 1720
; TotalNumSgprs: 39
; NumVgprs: 24
; ScratchSize: 0
; MemoryBound: 0
; FloatMode: 240
; IeeeMode: 1
; LDSByteSize: 8192 bytes/workgroup (compile time only)
; SGPRBlocks: 0
; VGPRBlocks: 2
; NumSGPRsForWavesPerEU: 39
; NumVGPRsForWavesPerEU: 24
; Occupancy: 16
; WaveLimiterHint : 0
; COMPUTE_PGM_RSRC2:SCRATCH_EN: 0
; COMPUTE_PGM_RSRC2:USER_SGPR: 2
; COMPUTE_PGM_RSRC2:TRAP_HANDLER: 0
; COMPUTE_PGM_RSRC2:TGID_X_EN: 1
; COMPUTE_PGM_RSRC2:TGID_Y_EN: 0
; COMPUTE_PGM_RSRC2:TGID_Z_EN: 1
; COMPUTE_PGM_RSRC2:TIDIG_COMP_CNT: 0
	.section	.text._ZL18rocblas_trtri_fillILi128E19rocblas_complex_numIfEPKPS1_EvP15_rocblas_handle13rocblas_fill_ililT1_llii,"axG",@progbits,_ZL18rocblas_trtri_fillILi128E19rocblas_complex_numIfEPKPS1_EvP15_rocblas_handle13rocblas_fill_ililT1_llii,comdat
	.globl	_ZL18rocblas_trtri_fillILi128E19rocblas_complex_numIfEPKPS1_EvP15_rocblas_handle13rocblas_fill_ililT1_llii ; -- Begin function _ZL18rocblas_trtri_fillILi128E19rocblas_complex_numIfEPKPS1_EvP15_rocblas_handle13rocblas_fill_ililT1_llii
	.p2align	8
	.type	_ZL18rocblas_trtri_fillILi128E19rocblas_complex_numIfEPKPS1_EvP15_rocblas_handle13rocblas_fill_ililT1_llii,@function
_ZL18rocblas_trtri_fillILi128E19rocblas_complex_numIfEPKPS1_EvP15_rocblas_handle13rocblas_fill_ililT1_llii: ; @_ZL18rocblas_trtri_fillILi128E19rocblas_complex_numIfEPKPS1_EvP15_rocblas_handle13rocblas_fill_ililT1_llii
; %bb.0:
	s_load_b64 s[2:3], s[0:1], 0x40
	s_lshr_b32 s12, ttmp7, 16
	s_wait_kmcnt 0x0
	s_cmp_ge_u32 s12, s3
	s_cbranch_scc1 .LBB24_19
; %bb.1:
	s_clause 0x1
	s_load_b128 s[4:7], s[0:1], 0x8
	s_load_b32 s16, s[0:1], 0x18
	s_mov_b32 s14, ttmp9
	s_ashr_i32 s21, s2, 31
	s_mov_b32 s20, s2
	s_clause 0x1
	s_load_b128 s[8:11], s[0:1], 0x20
	s_load_b64 s[30:31], s[0:1], 0x30
	s_add_nc_u64 s[26:27], s[0:1], 0x48
	s_wait_kmcnt 0x0
	v_cvt_f32_u32_e32 v1, s6
	s_add_co_i32 s13, s5, -2
	s_cvt_f32_u32 s15, s7
	s_ashr_i32 s19, s5, 31
	s_add_co_i32 s24, s5, -1
	v_rcp_iflag_f32_e32 v3, v1
	v_cvt_f64_i32_e32 v[1:2], s13
	s_cvt_f32_u32 s13, s6
	s_mov_b32 s18, s5
	s_sub_co_i32 s5, 0, s6
	s_ashr_i32 s25, s24, 31
	s_wait_alu 0xfffe
	s_fmamk_f32 s2, s15, 0x4f800000, s13
	s_mov_b32 s15, 0
	s_mul_u64 s[20:21], s[6:7], s[20:21]
	s_lshl_b64 s[22:23], s[14:15], 7
	s_delay_alu instid0(SALU_CYCLE_1) | instskip(SKIP_3) | instid1(VALU_DEP_1)
	v_dual_mul_f32 v3, 0x4f7ffffe, v3 :: v_dual_mov_b32 v4, s23
	v_s_rcp_f32 s2, s2
	s_mul_u64 s[24:25], s[24:25], s[18:19]
	s_ashr_i32 s17, s16, 31
	v_cvt_u32_f32_e32 v6, v3
	v_or_b32_e32 v3, s22, v0
	s_lshl_b64 s[22:23], s[24:25], 2
	s_lshr_b64 s[24:25], s[24:25], 1
	s_mul_f32 s13, s2, 0x5f7ffffc
	v_mul_lo_u32 v5, s5, v6
	s_wait_alu 0xfffe
	s_add_nc_u64 s[22:23], s[22:23], -7
	s_lshl_b64 s[30:31], s[30:31], 3
	s_mul_f32 s2, s13, 0x2f800000
	s_sub_nc_u64 s[34:35], 0, s[6:7]
	s_wait_alu 0xfffe
	s_delay_alu instid0(SALU_CYCLE_1)
	s_trunc_f32 s5, s2
	v_mul_hi_u32 v0, v6, v5
	v_cmp_gt_u64_e64 s2, s[20:21], v[3:4]
	v_mov_b32_e32 v5, 0
	s_wait_alu 0xfffe
	s_fmamk_f32 s13, s5, 0xcf800000, s13
	s_cvt_u32_f32 s29, s5
	s_wait_alu 0xfffe
	s_delay_alu instid0(SALU_CYCLE_1)
	s_cvt_u32_f32 s28, s13
	v_add_nc_u32_e32 v0, v6, v0
	s_branch .LBB24_3
.LBB24_2:                               ;   in Loop: Header=BB24_3 Depth=1
	s_wait_alu 0xfffe
	s_or_b32 exec_lo, exec_lo, s1
	s_add_co_i32 s12, s12, 0x10000
	s_wait_alu 0xfffe
	s_cmp_lt_u32 s12, s3
	s_cbranch_scc0 .LBB24_19
.LBB24_3:                               ; =>This Loop Header: Depth=1
                                        ;     Child Loop BB24_6 Depth 2
	s_and_saveexec_b32 s1, s2
	s_cbranch_execz .LBB24_2
; %bb.4:                                ;   in Loop: Header=BB24_3 Depth=1
	s_mov_b32 s13, s15
	s_clause 0x1
	s_load_b32 s0, s[26:27], 0xc
	s_load_b32 s14, s[26:27], 0x0
	s_lshl_b64 s[36:37], s[12:13], 3
	v_dual_mov_b32 v8, v4 :: v_dual_mov_b32 v7, v3
	s_wait_alu 0xfffe
	s_add_nc_u64 s[36:37], s[10:11], s[36:37]
	s_mov_b32 s5, 0
	s_load_b64 s[38:39], s[36:37], 0x0
	s_mov_b32 s37, s15
	s_wait_kmcnt 0x0
	s_and_b32 s36, s0, 0xffff
	s_wait_alu 0xfffe
	s_mul_u64 s[36:37], s[36:37], s[14:15]
	s_add_nc_u64 s[38:39], s[38:39], s[30:31]
	s_branch .LBB24_6
.LBB24_5:                               ;   in Loop: Header=BB24_6 Depth=2
	v_add_co_u32 v7, vcc_lo, v7, s36
	s_wait_alu 0xfffd
	v_add_co_ci_u32_e64 v8, null, s37, v8, vcc_lo
	s_delay_alu instid0(VALU_DEP_1)
	v_cmp_le_u64_e32 vcc_lo, s[20:21], v[7:8]
	s_or_b32 s5, vcc_lo, s5
	s_wait_alu 0xfffe
	s_and_not1_b32 exec_lo, exec_lo, s5
	s_cbranch_execz .LBB24_2
.LBB24_6:                               ;   Parent Loop BB24_3 Depth=1
                                        ; =>  This Inner Loop Header: Depth=2
	v_or_b32_e32 v6, s7, v8
                                        ; implicit-def: $vgpr9_vgpr10
	s_mov_b32 s0, exec_lo
	s_delay_alu instid0(VALU_DEP_1)
	v_cmpx_ne_u64_e32 0, v[5:6]
	s_wait_alu 0xfffe
	s_xor_b32 s13, exec_lo, s0
	s_cbranch_execz .LBB24_8
; %bb.7:                                ;   in Loop: Header=BB24_6 Depth=2
	s_mul_u64 s[40:41], s[34:35], s[28:29]
	s_delay_alu instid0(SALU_CYCLE_1)
	s_mul_hi_u32 s43, s28, s41
	s_mul_i32 s42, s28, s41
	s_mul_hi_u32 s14, s28, s40
	s_mul_hi_u32 s0, s29, s40
	s_wait_alu 0xfffe
	s_add_nc_u64 s[42:43], s[14:15], s[42:43]
	s_mul_i32 s14, s29, s40
	s_mul_hi_u32 s33, s29, s41
	s_wait_alu 0xfffe
	s_add_co_u32 s14, s42, s14
	s_add_co_ci_u32 s14, s43, s0
	s_add_co_ci_u32 s43, s33, 0
	s_mul_i32 s42, s29, s41
	s_wait_alu 0xfffe
	s_add_nc_u64 s[40:41], s[14:15], s[42:43]
	s_delay_alu instid0(SALU_CYCLE_1) | instskip(SKIP_4) | instid1(SALU_CYCLE_1)
	s_add_co_u32 s40, s28, s40
	s_cselect_b32 s0, -1, 0
	s_wait_alu 0xfffe
	s_cmp_lg_u32 s0, 0
	s_add_co_ci_u32 s41, s29, s41
	s_mul_u64 s[42:43], s[34:35], s[40:41]
	s_delay_alu instid0(SALU_CYCLE_1)
	s_mul_hi_u32 s45, s40, s43
	s_mul_i32 s44, s40, s43
	s_mul_hi_u32 s14, s40, s42
	s_mul_i32 s33, s41, s42
	s_wait_alu 0xfffe
	s_add_nc_u64 s[44:45], s[14:15], s[44:45]
	s_mul_hi_u32 s0, s41, s42
	s_mul_hi_u32 s46, s41, s43
	s_add_co_u32 s14, s44, s33
	s_wait_alu 0xfffe
	s_add_co_ci_u32 s14, s45, s0
	s_mul_i32 s42, s41, s43
	s_add_co_ci_u32 s43, s46, 0
	s_wait_alu 0xfffe
	s_add_nc_u64 s[42:43], s[14:15], s[42:43]
	s_delay_alu instid0(SALU_CYCLE_1)
	s_add_co_u32 s0, s40, s42
	s_cselect_b32 s14, -1, 0
	s_wait_alu 0xfffe
	v_mul_hi_u32 v6, v7, s0
	s_cmp_lg_u32 s14, 0
	v_mad_co_u64_u32 v[11:12], null, v8, s0, 0
	s_add_co_ci_u32 s14, s41, s43
	s_wait_alu 0xfffe
	v_mad_co_u64_u32 v[9:10], null, v7, s14, 0
	v_mad_co_u64_u32 v[13:14], null, v8, s14, 0
	s_delay_alu instid0(VALU_DEP_2) | instskip(SKIP_1) | instid1(VALU_DEP_3)
	v_add_co_u32 v6, vcc_lo, v6, v9
	s_wait_alu 0xfffd
	v_add_co_ci_u32_e64 v9, null, 0, v10, vcc_lo
	s_delay_alu instid0(VALU_DEP_2) | instskip(SKIP_1) | instid1(VALU_DEP_2)
	v_add_co_u32 v6, vcc_lo, v6, v11
	s_wait_alu 0xfffd
	v_add_co_ci_u32_e32 v6, vcc_lo, v9, v12, vcc_lo
	s_wait_alu 0xfffd
	v_add_co_ci_u32_e32 v9, vcc_lo, 0, v14, vcc_lo
	s_delay_alu instid0(VALU_DEP_2) | instskip(SKIP_1) | instid1(VALU_DEP_2)
	v_add_co_u32 v6, vcc_lo, v6, v13
	s_wait_alu 0xfffd
	v_add_co_ci_u32_e64 v11, null, 0, v9, vcc_lo
	s_delay_alu instid0(VALU_DEP_2) | instskip(SKIP_1) | instid1(VALU_DEP_3)
	v_mul_lo_u32 v12, s7, v6
	v_mad_co_u64_u32 v[9:10], null, s6, v6, 0
	v_mul_lo_u32 v13, s6, v11
	s_delay_alu instid0(VALU_DEP_2) | instskip(NEXT) | instid1(VALU_DEP_2)
	v_sub_co_u32 v9, vcc_lo, v7, v9
	v_add3_u32 v10, v10, v13, v12
	v_add_co_u32 v13, s0, v6, 2
	s_wait_alu 0xf1ff
	v_add_co_ci_u32_e64 v14, null, 0, v11, s0
	s_delay_alu instid0(VALU_DEP_3) | instskip(SKIP_3) | instid1(VALU_DEP_3)
	v_sub_nc_u32_e32 v12, v8, v10
	v_sub_co_u32 v15, s0, v9, s6
	s_wait_alu 0xfffd
	v_sub_co_ci_u32_e64 v10, null, v8, v10, vcc_lo
	v_subrev_co_ci_u32_e64 v12, null, s7, v12, vcc_lo
	s_delay_alu instid0(VALU_DEP_3) | instskip(SKIP_1) | instid1(VALU_DEP_2)
	v_cmp_le_u32_e32 vcc_lo, s6, v15
	s_wait_alu 0xf1ff
	v_subrev_co_ci_u32_e64 v12, null, 0, v12, s0
	s_wait_alu 0xfffd
	v_cndmask_b32_e64 v15, 0, -1, vcc_lo
	v_cmp_eq_u32_e64 s0, s7, v10
	s_delay_alu instid0(VALU_DEP_3)
	v_cmp_le_u32_e32 vcc_lo, s7, v12
	s_wait_alu 0xfffd
	v_cndmask_b32_e64 v16, 0, -1, vcc_lo
	v_cmp_le_u32_e32 vcc_lo, s6, v9
	s_wait_alu 0xfffd
	v_cndmask_b32_e64 v9, 0, -1, vcc_lo
	;; [unrolled: 3-line block ×3, first 2 shown]
	v_cmp_eq_u32_e32 vcc_lo, s7, v12
	s_wait_alu 0xf1ff
	s_delay_alu instid0(VALU_DEP_2)
	v_cndmask_b32_e64 v9, v17, v9, s0
	s_wait_alu 0xfffd
	v_cndmask_b32_e32 v12, v16, v15, vcc_lo
	v_add_co_u32 v15, vcc_lo, v6, 1
	s_wait_alu 0xfffd
	v_add_co_ci_u32_e64 v16, null, 0, v11, vcc_lo
	s_delay_alu instid0(VALU_DEP_3) | instskip(SKIP_2) | instid1(VALU_DEP_3)
	v_cmp_ne_u32_e32 vcc_lo, 0, v12
	s_wait_alu 0xfffd
	v_cndmask_b32_e32 v12, v15, v13, vcc_lo
	v_cndmask_b32_e32 v10, v16, v14, vcc_lo
	v_cmp_ne_u32_e32 vcc_lo, 0, v9
	s_wait_alu 0xfffd
	s_delay_alu instid0(VALU_DEP_2)
	v_dual_cndmask_b32 v9, v6, v12 :: v_dual_cndmask_b32 v10, v11, v10
.LBB24_8:                               ;   in Loop: Header=BB24_6 Depth=2
	s_wait_alu 0xfffe
	s_and_not1_saveexec_b32 s0, s13
	s_cbranch_execz .LBB24_10
; %bb.9:                                ;   in Loop: Header=BB24_6 Depth=2
	v_mul_hi_u32 v6, v7, v0
	s_delay_alu instid0(VALU_DEP_1) | instskip(NEXT) | instid1(VALU_DEP_1)
	v_mul_lo_u32 v9, v6, s6
	v_sub_nc_u32_e32 v9, v7, v9
	s_delay_alu instid0(VALU_DEP_1) | instskip(SKIP_2) | instid1(VALU_DEP_2)
	v_subrev_nc_u32_e32 v11, s6, v9
	v_cmp_le_u32_e32 vcc_lo, s6, v9
	s_wait_alu 0xfffd
	v_dual_cndmask_b32 v9, v9, v11 :: v_dual_add_nc_u32 v10, 1, v6
	s_delay_alu instid0(VALU_DEP_1) | instskip(NEXT) | instid1(VALU_DEP_2)
	v_cndmask_b32_e32 v6, v6, v10, vcc_lo
	v_cmp_le_u32_e32 vcc_lo, s6, v9
	s_delay_alu instid0(VALU_DEP_2) | instskip(SKIP_1) | instid1(VALU_DEP_1)
	v_add_nc_u32_e32 v10, 1, v6
	s_wait_alu 0xfffd
	v_dual_cndmask_b32 v9, v6, v10 :: v_dual_mov_b32 v10, v5
.LBB24_10:                              ;   in Loop: Header=BB24_6 Depth=2
	s_wait_alu 0xfffe
	s_or_b32 exec_lo, exec_lo, s0
	s_delay_alu instid0(VALU_DEP_1) | instskip(NEXT) | instid1(VALU_DEP_2)
	v_mul_lo_u32 v6, v10, s6
	v_mul_lo_u32 v13, v9, s7
	v_mad_co_u64_u32 v[11:12], null, v9, s6, 0
	s_cmp_lt_i32 s4, 0x7a
	v_add3_u32 v6, v12, v13, v6
	v_sub_co_u32 v11, vcc_lo, v7, v11
	s_wait_alu 0xfffd
	s_delay_alu instid0(VALU_DEP_2)
	v_sub_co_ci_u32_e64 v12, null, v8, v6, vcc_lo
	s_cbranch_scc1 .LBB24_13
; %bb.11:                               ;   in Loop: Header=BB24_6 Depth=2
	s_mov_b32 s0, 0
	s_cmp_eq_u32 s4, 0x7a
	s_mov_b32 s13, 0
                                        ; implicit-def: $vgpr13_vgpr14
	s_cbranch_scc0 .LBB24_14
; %bb.12:                               ;   in Loop: Header=BB24_6 Depth=2
	v_lshlrev_b64_e32 v[13:14], 3, v[11:12]
	s_mov_b32 s13, -1
	s_delay_alu instid0(VALU_DEP_1) | instskip(SKIP_1) | instid1(VALU_DEP_2)
	v_sub_co_u32 v6, vcc_lo, s22, v13
	s_wait_alu 0xfffd
	v_sub_co_ci_u32_e64 v13, null, s23, v14, vcc_lo
	s_delay_alu instid0(VALU_DEP_2) | instskip(NEXT) | instid1(VALU_DEP_2)
	v_cvt_f64_u32_e32 v[15:16], v6
	v_cvt_f64_u32_e32 v[13:14], v13
	s_delay_alu instid0(VALU_DEP_1) | instskip(NEXT) | instid1(VALU_DEP_1)
	v_ldexp_f64 v[13:14], v[13:14], 32
	v_add_f64_e32 v[13:14], v[13:14], v[15:16]
	s_delay_alu instid0(VALU_DEP_1) | instskip(SKIP_2) | instid1(VALU_DEP_1)
	v_cmp_gt_f64_e32 vcc_lo, 0x10000000, v[13:14]
	s_wait_alu 0xfffd
	v_cndmask_b32_e64 v6, 0, 0x100, vcc_lo
	v_ldexp_f64 v[13:14], v[13:14], v6
	v_cndmask_b32_e64 v6, 0, 0xffffff80, vcc_lo
	s_delay_alu instid0(VALU_DEP_2) | instskip(SKIP_1) | instid1(TRANS32_DEP_1)
	v_rsq_f64_e32 v[15:16], v[13:14]
	v_cmp_class_f64_e64 vcc_lo, v[13:14], 0x260
	v_mul_f64_e32 v[17:18], v[13:14], v[15:16]
	v_mul_f64_e32 v[15:16], 0.5, v[15:16]
	s_delay_alu instid0(VALU_DEP_1) | instskip(NEXT) | instid1(VALU_DEP_1)
	v_fma_f64 v[19:20], -v[15:16], v[17:18], 0.5
	v_fma_f64 v[17:18], v[17:18], v[19:20], v[17:18]
	v_fma_f64 v[15:16], v[15:16], v[19:20], v[15:16]
	s_delay_alu instid0(VALU_DEP_2) | instskip(NEXT) | instid1(VALU_DEP_1)
	v_fma_f64 v[19:20], -v[17:18], v[17:18], v[13:14]
	v_fma_f64 v[17:18], v[19:20], v[15:16], v[17:18]
	s_delay_alu instid0(VALU_DEP_1) | instskip(NEXT) | instid1(VALU_DEP_1)
	v_fma_f64 v[19:20], -v[17:18], v[17:18], v[13:14]
	v_fma_f64 v[15:16], v[19:20], v[15:16], v[17:18]
	s_delay_alu instid0(VALU_DEP_1) | instskip(SKIP_2) | instid1(VALU_DEP_2)
	v_ldexp_f64 v[15:16], v[15:16], v6
	v_mul_lo_u32 v6, v10, s8
	s_wait_alu 0xfffd
	v_dual_cndmask_b32 v14, v16, v14 :: v_dual_cndmask_b32 v13, v15, v13
	s_delay_alu instid0(VALU_DEP_1) | instskip(NEXT) | instid1(VALU_DEP_1)
	v_fma_f64 v[13:14], v[13:14], 0.5, -0.5
	v_floor_f64_e32 v[13:14], v[13:14]
	s_delay_alu instid0(VALU_DEP_1) | instskip(NEXT) | instid1(VALU_DEP_1)
	v_add_f64_e64 v[13:14], v[1:2], -v[13:14]
	v_trunc_f64_e32 v[13:14], v[13:14]
	s_delay_alu instid0(VALU_DEP_1) | instskip(NEXT) | instid1(VALU_DEP_1)
	v_ldexp_f64 v[15:16], v[13:14], 0xffffffe0
	v_floor_f64_e32 v[15:16], v[15:16]
	s_delay_alu instid0(VALU_DEP_1) | instskip(SKIP_2) | instid1(VALU_DEP_3)
	v_fma_f64 v[13:14], 0xc1f00000, v[15:16], v[13:14]
	v_cvt_u32_f64_e32 v15, v[15:16]
	v_mad_co_u64_u32 v[16:17], null, v9, s8, 0
	v_cvt_u32_f64_e32 v14, v[13:14]
	v_mul_lo_u32 v13, v9, s9
	s_delay_alu instid0(VALU_DEP_1) | instskip(SKIP_1) | instid1(VALU_DEP_2)
	v_add3_u32 v17, v17, v13, v6
	v_mul_lo_u32 v6, v15, s16
	v_lshlrev_b64_e32 v[16:17], 3, v[16:17]
	v_sub_co_u32 v13, vcc_lo, s18, v14
	s_wait_alu 0xfffd
	v_sub_co_ci_u32_e64 v22, null, s19, v15, vcc_lo
	v_mul_lo_u32 v23, v14, s17
	v_mad_co_u64_u32 v[18:19], null, v14, s16, 0
	v_add_co_u32 v24, vcc_lo, v13, -1
	s_wait_alu 0xfffd
	v_add_co_ci_u32_e64 v25, null, -1, v22, vcc_lo
	v_sub_co_u32 v20, vcc_lo, v11, s24
	s_delay_alu instid0(VALU_DEP_4) | instskip(NEXT) | instid1(VALU_DEP_3)
	v_add3_u32 v19, v19, v23, v6
	v_mul_lo_u32 v6, v25, v13
	v_mul_lo_u32 v25, v24, v22
	v_mad_co_u64_u32 v[22:23], null, v24, v13, 0
	s_wait_alu 0xfffd
	v_subrev_co_ci_u32_e64 v21, null, s25, v12, vcc_lo
	v_lshlrev_b64_e32 v[18:19], 3, v[18:19]
	v_add_co_u32 v13, vcc_lo, s38, v16
	s_wait_alu 0xfffd
	v_add_co_ci_u32_e64 v16, null, s39, v17, vcc_lo
	v_lshlrev_b64_e32 v[20:21], 3, v[20:21]
	v_add3_u32 v23, v23, v25, v6
	v_add_co_u32 v6, vcc_lo, v13, v18
	s_wait_alu 0xfffd
	v_add_co_ci_u32_e64 v18, null, v16, v19, vcc_lo
	s_delay_alu instid0(VALU_DEP_3) | instskip(SKIP_4) | instid1(VALU_DEP_4)
	v_lshlrev_b64_e32 v[16:17], 2, v[22:23]
	v_lshlrev_b64_e32 v[13:14], 3, v[14:15]
	v_add_co_u32 v6, vcc_lo, v6, v20
	s_wait_alu 0xfffd
	v_add_co_ci_u32_e64 v15, null, v18, v21, vcc_lo
	v_and_b32_e32 v16, -8, v16
	s_delay_alu instid0(VALU_DEP_3) | instskip(SKIP_1) | instid1(VALU_DEP_3)
	v_add_co_u32 v6, vcc_lo, v6, v13
	s_wait_alu 0xfffd
	v_add_co_ci_u32_e64 v13, null, v15, v14, vcc_lo
	s_delay_alu instid0(VALU_DEP_2) | instskip(SKIP_1) | instid1(VALU_DEP_2)
	v_add_co_u32 v15, vcc_lo, v6, v16
	s_wait_alu 0xfffd
	v_add_co_ci_u32_e64 v16, null, v13, v17, vcc_lo
	s_delay_alu instid0(VALU_DEP_2) | instskip(SKIP_1) | instid1(VALU_DEP_2)
	v_add_co_u32 v13, vcc_lo, v15, 8
	s_wait_alu 0xfffd
	v_add_co_ci_u32_e64 v14, null, 0, v16, vcc_lo
	flat_store_b32 v[15:16], v5 offset:8
	s_branch .LBB24_14
.LBB24_13:                              ;   in Loop: Header=BB24_6 Depth=2
	s_mov_b32 s0, -1
	s_mov_b32 s13, 0
                                        ; implicit-def: $vgpr13_vgpr14
.LBB24_14:                              ;   in Loop: Header=BB24_6 Depth=2
	s_wait_alu 0xfffe
	s_and_b32 vcc_lo, exec_lo, s0
	s_wait_alu 0xfffe
	s_cbranch_vccz .LBB24_17
; %bb.15:                               ;   in Loop: Header=BB24_6 Depth=2
	s_cmp_eq_u32 s4, 0x79
                                        ; implicit-def: $vgpr13_vgpr14
	s_cbranch_scc0 .LBB24_17
; %bb.16:                               ;   in Loop: Header=BB24_6 Depth=2
	v_lshlrev_b64_e32 v[13:14], 3, v[11:12]
	s_mov_b32 s13, -1
	s_delay_alu instid0(VALU_DEP_1) | instskip(NEXT) | instid1(VALU_DEP_2)
	v_cvt_f64_u32_e32 v[14:15], v14
	v_or_b32_e32 v6, 1, v13
	s_delay_alu instid0(VALU_DEP_1) | instskip(NEXT) | instid1(VALU_DEP_3)
	v_cvt_f64_u32_e32 v[16:17], v6
	v_ldexp_f64 v[13:14], v[14:15], 32
	s_delay_alu instid0(VALU_DEP_1) | instskip(NEXT) | instid1(VALU_DEP_1)
	v_add_f64_e32 v[13:14], v[13:14], v[16:17]
	v_cmp_gt_f64_e32 vcc_lo, 0x10000000, v[13:14]
	s_wait_alu 0xfffd
	v_cndmask_b32_e64 v6, 0, 0x100, vcc_lo
	s_delay_alu instid0(VALU_DEP_1) | instskip(SKIP_1) | instid1(VALU_DEP_2)
	v_ldexp_f64 v[13:14], v[13:14], v6
	v_cndmask_b32_e64 v6, 0, 0xffffff80, vcc_lo
	v_rsq_f64_e32 v[15:16], v[13:14]
	v_cmp_class_f64_e64 vcc_lo, v[13:14], 0x260
	s_delay_alu instid0(TRANS32_DEP_1) | instskip(SKIP_1) | instid1(VALU_DEP_1)
	v_mul_f64_e32 v[17:18], v[13:14], v[15:16]
	v_mul_f64_e32 v[15:16], 0.5, v[15:16]
	v_fma_f64 v[19:20], -v[15:16], v[17:18], 0.5
	s_delay_alu instid0(VALU_DEP_1) | instskip(SKIP_1) | instid1(VALU_DEP_2)
	v_fma_f64 v[17:18], v[17:18], v[19:20], v[17:18]
	v_fma_f64 v[15:16], v[15:16], v[19:20], v[15:16]
	v_fma_f64 v[19:20], -v[17:18], v[17:18], v[13:14]
	s_delay_alu instid0(VALU_DEP_1) | instskip(NEXT) | instid1(VALU_DEP_1)
	v_fma_f64 v[17:18], v[19:20], v[15:16], v[17:18]
	v_fma_f64 v[19:20], -v[17:18], v[17:18], v[13:14]
	s_delay_alu instid0(VALU_DEP_1) | instskip(SKIP_1) | instid1(VALU_DEP_2)
	v_fma_f64 v[15:16], v[19:20], v[15:16], v[17:18]
	v_mul_lo_u32 v18, v9, s9
	v_ldexp_f64 v[15:16], v[15:16], v6
	v_mul_lo_u32 v6, v10, s8
	v_mad_co_u64_u32 v[9:10], null, v9, s8, 0
	s_delay_alu instid0(VALU_DEP_1) | instskip(NEXT) | instid1(VALU_DEP_1)
	v_add3_u32 v10, v10, v18, v6
	v_lshlrev_b64_e32 v[9:10], 3, v[9:10]
	s_wait_alu 0xfffd
	v_dual_cndmask_b32 v14, v16, v14 :: v_dual_cndmask_b32 v13, v15, v13
	s_delay_alu instid0(VALU_DEP_1) | instskip(NEXT) | instid1(VALU_DEP_1)
	v_add_f64_e32 v[13:14], -1.0, v[13:14]
	v_mul_f64_e32 v[13:14], 0.5, v[13:14]
	s_delay_alu instid0(VALU_DEP_1) | instskip(NEXT) | instid1(VALU_DEP_1)
	v_trunc_f64_e32 v[13:14], v[13:14]
	v_ldexp_f64 v[15:16], v[13:14], 0xffffffe0
	s_delay_alu instid0(VALU_DEP_1) | instskip(NEXT) | instid1(VALU_DEP_1)
	v_floor_f64_e32 v[15:16], v[15:16]
	v_fma_f64 v[13:14], 0xc1f00000, v[15:16], v[13:14]
	v_cvt_u32_f64_e32 v15, v[15:16]
	s_delay_alu instid0(VALU_DEP_2) | instskip(NEXT) | instid1(VALU_DEP_1)
	v_cvt_u32_f64_e32 v14, v[13:14]
	v_mad_co_u64_u32 v[16:17], null, v14, v14, v[14:15]
	v_mul_lo_u32 v19, v14, v15
	v_mul_lo_u32 v15, s16, v15
	;; [unrolled: 1-line block ×3, first 2 shown]
	v_mad_co_u64_u32 v[13:14], null, s16, v14, s[16:17]
	s_delay_alu instid0(VALU_DEP_4) | instskip(NEXT) | instid1(VALU_DEP_2)
	v_add3_u32 v17, v19, v17, v19
	v_add3_u32 v14, v20, v14, v15
	s_delay_alu instid0(VALU_DEP_2) | instskip(NEXT) | instid1(VALU_DEP_2)
	v_lshrrev_b64 v[15:16], 1, v[16:17]
	v_lshlrev_b64_e32 v[13:14], 3, v[13:14]
	s_delay_alu instid0(VALU_DEP_2) | instskip(SKIP_1) | instid1(VALU_DEP_3)
	v_sub_co_u32 v11, vcc_lo, v11, v15
	s_wait_alu 0xfffd
	v_sub_co_ci_u32_e64 v12, null, v12, v16, vcc_lo
	v_add_co_u32 v6, vcc_lo, s38, v9
	s_wait_alu 0xfffd
	v_add_co_ci_u32_e64 v15, null, s39, v10, vcc_lo
	s_delay_alu instid0(VALU_DEP_3) | instskip(NEXT) | instid1(VALU_DEP_3)
	v_lshlrev_b64_e32 v[9:10], 3, v[11:12]
	v_add_co_u32 v6, vcc_lo, v6, v13
	s_wait_alu 0xfffd
	s_delay_alu instid0(VALU_DEP_3) | instskip(NEXT) | instid1(VALU_DEP_2)
	v_add_co_ci_u32_e64 v11, null, v15, v14, vcc_lo
	v_add_co_u32 v13, vcc_lo, v6, v9
	s_wait_alu 0xfffd
	s_delay_alu instid0(VALU_DEP_2)
	v_add_co_ci_u32_e64 v14, null, v11, v10, vcc_lo
	flat_store_b32 v[13:14], v5
.LBB24_17:                              ;   in Loop: Header=BB24_6 Depth=2
	s_wait_alu 0xfffe
	s_and_b32 vcc_lo, exec_lo, s13
	s_wait_alu 0xfffe
	s_cbranch_vccz .LBB24_5
; %bb.18:                               ;   in Loop: Header=BB24_6 Depth=2
	flat_store_b32 v[13:14], v5 offset:4
	s_branch .LBB24_5
.LBB24_19:
	s_endpgm
	.section	.rodata,"a",@progbits
	.p2align	6, 0x0
	.amdhsa_kernel _ZL18rocblas_trtri_fillILi128E19rocblas_complex_numIfEPKPS1_EvP15_rocblas_handle13rocblas_fill_ililT1_llii
		.amdhsa_group_segment_fixed_size 0
		.amdhsa_private_segment_fixed_size 0
		.amdhsa_kernarg_size 328
		.amdhsa_user_sgpr_count 2
		.amdhsa_user_sgpr_dispatch_ptr 0
		.amdhsa_user_sgpr_queue_ptr 0
		.amdhsa_user_sgpr_kernarg_segment_ptr 1
		.amdhsa_user_sgpr_dispatch_id 0
		.amdhsa_user_sgpr_private_segment_size 0
		.amdhsa_wavefront_size32 1
		.amdhsa_uses_dynamic_stack 0
		.amdhsa_enable_private_segment 0
		.amdhsa_system_sgpr_workgroup_id_x 1
		.amdhsa_system_sgpr_workgroup_id_y 0
		.amdhsa_system_sgpr_workgroup_id_z 1
		.amdhsa_system_sgpr_workgroup_info 0
		.amdhsa_system_vgpr_workitem_id 0
		.amdhsa_next_free_vgpr 26
		.amdhsa_next_free_sgpr 47
		.amdhsa_reserve_vcc 1
		.amdhsa_float_round_mode_32 0
		.amdhsa_float_round_mode_16_64 0
		.amdhsa_float_denorm_mode_32 3
		.amdhsa_float_denorm_mode_16_64 3
		.amdhsa_fp16_overflow 0
		.amdhsa_workgroup_processor_mode 1
		.amdhsa_memory_ordered 1
		.amdhsa_forward_progress 1
		.amdhsa_inst_pref_size 20
		.amdhsa_round_robin_scheduling 0
		.amdhsa_exception_fp_ieee_invalid_op 0
		.amdhsa_exception_fp_denorm_src 0
		.amdhsa_exception_fp_ieee_div_zero 0
		.amdhsa_exception_fp_ieee_overflow 0
		.amdhsa_exception_fp_ieee_underflow 0
		.amdhsa_exception_fp_ieee_inexact 0
		.amdhsa_exception_int_div_zero 0
	.end_amdhsa_kernel
	.section	.text._ZL18rocblas_trtri_fillILi128E19rocblas_complex_numIfEPKPS1_EvP15_rocblas_handle13rocblas_fill_ililT1_llii,"axG",@progbits,_ZL18rocblas_trtri_fillILi128E19rocblas_complex_numIfEPKPS1_EvP15_rocblas_handle13rocblas_fill_ililT1_llii,comdat
.Lfunc_end24:
	.size	_ZL18rocblas_trtri_fillILi128E19rocblas_complex_numIfEPKPS1_EvP15_rocblas_handle13rocblas_fill_ililT1_llii, .Lfunc_end24-_ZL18rocblas_trtri_fillILi128E19rocblas_complex_numIfEPKPS1_EvP15_rocblas_handle13rocblas_fill_ililT1_llii
                                        ; -- End function
	.set _ZL18rocblas_trtri_fillILi128E19rocblas_complex_numIfEPKPS1_EvP15_rocblas_handle13rocblas_fill_ililT1_llii.num_vgpr, 26
	.set _ZL18rocblas_trtri_fillILi128E19rocblas_complex_numIfEPKPS1_EvP15_rocblas_handle13rocblas_fill_ililT1_llii.num_agpr, 0
	.set _ZL18rocblas_trtri_fillILi128E19rocblas_complex_numIfEPKPS1_EvP15_rocblas_handle13rocblas_fill_ililT1_llii.numbered_sgpr, 47
	.set _ZL18rocblas_trtri_fillILi128E19rocblas_complex_numIfEPKPS1_EvP15_rocblas_handle13rocblas_fill_ililT1_llii.num_named_barrier, 0
	.set _ZL18rocblas_trtri_fillILi128E19rocblas_complex_numIfEPKPS1_EvP15_rocblas_handle13rocblas_fill_ililT1_llii.private_seg_size, 0
	.set _ZL18rocblas_trtri_fillILi128E19rocblas_complex_numIfEPKPS1_EvP15_rocblas_handle13rocblas_fill_ililT1_llii.uses_vcc, 1
	.set _ZL18rocblas_trtri_fillILi128E19rocblas_complex_numIfEPKPS1_EvP15_rocblas_handle13rocblas_fill_ililT1_llii.uses_flat_scratch, 0
	.set _ZL18rocblas_trtri_fillILi128E19rocblas_complex_numIfEPKPS1_EvP15_rocblas_handle13rocblas_fill_ililT1_llii.has_dyn_sized_stack, 0
	.set _ZL18rocblas_trtri_fillILi128E19rocblas_complex_numIfEPKPS1_EvP15_rocblas_handle13rocblas_fill_ililT1_llii.has_recursion, 0
	.set _ZL18rocblas_trtri_fillILi128E19rocblas_complex_numIfEPKPS1_EvP15_rocblas_handle13rocblas_fill_ililT1_llii.has_indirect_call, 0
	.section	.AMDGPU.csdata,"",@progbits
; Kernel info:
; codeLenInByte = 2496
; TotalNumSgprs: 49
; NumVgprs: 26
; ScratchSize: 0
; MemoryBound: 0
; FloatMode: 240
; IeeeMode: 1
; LDSByteSize: 0 bytes/workgroup (compile time only)
; SGPRBlocks: 0
; VGPRBlocks: 3
; NumSGPRsForWavesPerEU: 49
; NumVGPRsForWavesPerEU: 26
; Occupancy: 16
; WaveLimiterHint : 1
; COMPUTE_PGM_RSRC2:SCRATCH_EN: 0
; COMPUTE_PGM_RSRC2:USER_SGPR: 2
; COMPUTE_PGM_RSRC2:TRAP_HANDLER: 0
; COMPUTE_PGM_RSRC2:TGID_X_EN: 1
; COMPUTE_PGM_RSRC2:TGID_Y_EN: 0
; COMPUTE_PGM_RSRC2:TGID_Z_EN: 1
; COMPUTE_PGM_RSRC2:TIDIG_COMP_CNT: 0
	.section	.text._ZL26rocblas_trtri_small_kernelILi16E19rocblas_complex_numIfEPKPKS1_PKPS1_Ev13rocblas_fill_17rocblas_diagonal_iT1_lillT2_lilli,"axG",@progbits,_ZL26rocblas_trtri_small_kernelILi16E19rocblas_complex_numIfEPKPKS1_PKPS1_Ev13rocblas_fill_17rocblas_diagonal_iT1_lillT2_lilli,comdat
	.globl	_ZL26rocblas_trtri_small_kernelILi16E19rocblas_complex_numIfEPKPKS1_PKPS1_Ev13rocblas_fill_17rocblas_diagonal_iT1_lillT2_lilli ; -- Begin function _ZL26rocblas_trtri_small_kernelILi16E19rocblas_complex_numIfEPKPKS1_PKPS1_Ev13rocblas_fill_17rocblas_diagonal_iT1_lillT2_lilli
	.p2align	8
	.type	_ZL26rocblas_trtri_small_kernelILi16E19rocblas_complex_numIfEPKPKS1_PKPS1_Ev13rocblas_fill_17rocblas_diagonal_iT1_lillT2_lilli,@function
_ZL26rocblas_trtri_small_kernelILi16E19rocblas_complex_numIfEPKPKS1_PKPS1_Ev13rocblas_fill_17rocblas_diagonal_iT1_lillT2_lilli: ; @_ZL26rocblas_trtri_small_kernelILi16E19rocblas_complex_numIfEPKPKS1_PKPS1_Ev13rocblas_fill_17rocblas_diagonal_iT1_lillT2_lilli
; %bb.0:
	s_load_b32 s15, s[0:1], 0x60
	s_lshr_b32 s2, ttmp7, 16
	s_wait_kmcnt 0x0
	s_cmp_ge_u32 s2, s15
	s_cbranch_scc1 .LBB25_45
; %bb.1:
	s_clause 0x5
	s_load_b32 s22, s[0:1], 0x20
	s_load_b96 s[16:18], s[0:1], 0x40
	s_load_b128 s[4:7], s[0:1], 0x30
	s_load_b64 s[24:25], s[0:1], 0x58
	s_load_b96 s[12:14], s[0:1], 0x0
	s_load_b128 s[8:11], s[0:1], 0x10
	s_mov_b32 s3, 0
	s_mov_b32 s20, ttmp9
	s_mov_b32 s21, s3
	s_mov_b32 s27, s3
	v_dual_mov_b32 v2, 0 :: v_dual_lshlrev_b32 v9, 3, v0
	v_add_nc_u32_e32 v14, 1, v0
	v_lshlrev_b32_e32 v18, 3, v0
	s_wait_kmcnt 0x0
	s_ashr_i32 s23, s22, 31
	s_ashr_i32 s35, s18, 31
	s_mul_u64 s[4:5], s[4:5], s[20:21]
	s_mov_b32 s34, s18
	s_cmp_gt_i32 s14, 0
	s_mul_u64 s[20:21], s[24:25], s[20:21]
	s_cselect_b32 s28, -1, 0
	s_cmp_lg_u32 s12, 0x7a
	v_mul_lo_u32 v1, v0, s14
	s_cselect_b32 s29, -1, 0
	s_add_co_i32 s26, s14, -1
	s_cmp_lg_u32 s13, 0x84
	s_mul_u64 s[12:13], s[22:23], s[26:27]
	s_cselect_b32 s30, -1, 0
	s_lshl_b64 s[4:5], s[4:5], 3
	s_lshl_b64 s[12:13], s[12:13], 3
	;; [unrolled: 1-line block ×3, first 2 shown]
	s_add_nc_u64 s[12:13], s[4:5], s[12:13]
	s_lshl_b64 s[20:21], s[20:21], 3
	s_add_nc_u64 s[18:19], s[12:13], s[10:11]
	s_lshl_b64 s[12:13], s[22:23], 3
	s_mul_u64 s[22:23], s[34:35], s[26:27]
	s_lshl_b64 s[16:17], s[16:17], 3
	s_lshl_b64 s[22:23], s[22:23], 3
	v_sub_nc_u32_e32 v3, s26, v0
	s_add_nc_u64 s[22:23], s[20:21], s[22:23]
	v_add_co_u32 v12, s1, s18, v9
	s_add_nc_u64 s[22:23], s[22:23], s[16:17]
	s_lshl_b32 s31, s14, 3
	v_add_co_ci_u32_e64 v13, null, s19, 0, s1
	v_add_co_u32 v16, s1, s22, v9
	v_cmp_gt_u32_e64 s0, s14, v0
	v_add_lshl_u32 v10, v1, v0, 3
	v_lshlrev_b32_e32 v11, 3, v3
	v_add_nc_u32_e32 v15, s31, v9
	s_wait_alu 0xf1ff
	v_add_co_ci_u32_e64 v17, null, s23, 0, s1
	v_mov_b32_e32 v1, 1.0
	s_lshl_b64 s[22:23], s[34:35], 3
	s_sub_nc_u64 s[18:19], 0, s[12:13]
	s_add_co_i32 s33, s31, 8
	s_wait_alu 0xfffe
	s_sub_nc_u64 s[24:25], 0, s[22:23]
	s_branch .LBB25_4
.LBB25_2:                               ;   in Loop: Header=BB25_4 Depth=1
	s_wait_alu 0xfffe
	s_or_b32 exec_lo, exec_lo, s26
.LBB25_3:                               ;   in Loop: Header=BB25_4 Depth=1
	s_add_co_i32 s2, s2, 0x10000
	s_delay_alu instid0(SALU_CYCLE_1)
	s_cmp_lt_u32 s2, s15
	s_cbranch_scc0 .LBB25_45
.LBB25_4:                               ; =>This Loop Header: Depth=1
                                        ;     Child Loop BB25_8 Depth 2
                                        ;     Child Loop BB25_12 Depth 2
	;; [unrolled: 1-line block ×3, first 2 shown]
                                        ;       Child Loop BB25_33 Depth 3
                                        ;     Child Loop BB25_40 Depth 2
                                        ;     Child Loop BB25_44 Depth 2
	s_and_not1_b32 vcc_lo, exec_lo, s28
	s_wait_alu 0xfffe
	s_cbranch_vccnz .LBB25_3
; %bb.5:                                ;   in Loop: Header=BB25_4 Depth=1
	s_lshl_b64 s[26:27], s[2:3], 3
	s_wait_alu 0xfffe
	s_add_nc_u64 s[34:35], s[6:7], s[26:27]
	global_load_b64 v[3:4], v2, s[34:35]
	s_and_saveexec_b32 s34, s0
	s_cbranch_execz .LBB25_13
; %bb.6:                                ;   in Loop: Header=BB25_4 Depth=1
	s_add_nc_u64 s[26:27], s[8:9], s[26:27]
	s_and_not1_b32 vcc_lo, exec_lo, s29
	global_load_b64 v[5:6], v2, s[26:27]
	s_mov_b32 s1, -1
	s_wait_alu 0xfffe
	s_cbranch_vccnz .LBB25_10
; %bb.7:                                ;   in Loop: Header=BB25_4 Depth=1
	s_wait_loadcnt 0x0
	v_add_co_u32 v7, vcc_lo, v5, v12
	s_wait_alu 0xfffd
	v_add_co_ci_u32_e64 v8, null, v6, v13, vcc_lo
	v_mov_b32_e32 v19, v11
	s_mov_b32 s26, 0
	s_mov_b32 s27, s14
.LBB25_8:                               ;   Parent Loop BB25_4 Depth=1
                                        ; =>  This Inner Loop Header: Depth=2
	flat_load_b64 v[20:21], v[7:8]
	s_wait_alu 0xfffe
	s_add_co_i32 s27, s27, -1
	v_add_co_u32 v7, vcc_lo, v7, s18
	s_wait_alu 0xfffe
	v_cmp_le_u32_e64 s1, s27, v0
	s_wait_alu 0xfffd
	v_add_co_ci_u32_e64 v8, null, s19, v8, vcc_lo
	s_or_b32 s26, s1, s26
	s_wait_loadcnt_dscnt 0x0
	ds_store_b64 v19, v[20:21]
	v_add_nc_u32_e32 v19, s31, v19
	s_wait_alu 0xfffe
	s_and_not1_b32 exec_lo, exec_lo, s26
	s_cbranch_execnz .LBB25_8
; %bb.9:                                ;   in Loop: Header=BB25_4 Depth=1
	s_or_b32 exec_lo, exec_lo, s26
	s_mov_b32 s1, 0
.LBB25_10:                              ;   in Loop: Header=BB25_4 Depth=1
	s_wait_alu 0xfffe
	s_and_b32 vcc_lo, exec_lo, s1
	s_wait_alu 0xfffe
	s_cbranch_vccz .LBB25_13
; %bb.11:                               ;   in Loop: Header=BB25_4 Depth=1
	s_wait_loadcnt 0x0
	v_add_co_u32 v5, vcc_lo, v5, s10
	s_wait_alu 0xfffd
	v_add_co_ci_u32_e64 v6, null, s11, v6, vcc_lo
	v_dual_mov_b32 v7, v9 :: v_dual_mov_b32 v8, v14
	s_delay_alu instid0(VALU_DEP_3) | instskip(SKIP_1) | instid1(VALU_DEP_3)
	v_add_co_u32 v5, vcc_lo, v5, s4
	s_wait_alu 0xfffd
	v_add_co_ci_u32_e64 v6, null, s5, v6, vcc_lo
	s_mov_b32 s26, 0
	v_add_co_u32 v5, vcc_lo, v5, v18
	s_wait_alu 0xfffd
	v_add_co_ci_u32_e64 v6, null, 0, v6, vcc_lo
.LBB25_12:                              ;   Parent Loop BB25_4 Depth=1
                                        ; =>  This Inner Loop Header: Depth=2
	flat_load_b64 v[19:20], v[5:6]
	v_add_nc_u32_e32 v8, -1, v8
	v_add_co_u32 v5, vcc_lo, v5, s12
	s_wait_alu 0xfffd
	v_add_co_ci_u32_e64 v6, null, s13, v6, vcc_lo
	s_delay_alu instid0(VALU_DEP_3)
	v_cmp_eq_u32_e64 s1, 0, v8
	s_wait_alu 0xfffe
	s_or_b32 s26, s1, s26
	s_wait_loadcnt_dscnt 0x0
	ds_store_b64 v7, v[19:20]
	v_add_nc_u32_e32 v7, s31, v7
	s_wait_alu 0xfffe
	s_and_not1_b32 exec_lo, exec_lo, s26
	s_cbranch_execnz .LBB25_12
.LBB25_13:                              ;   in Loop: Header=BB25_4 Depth=1
	s_wait_alu 0xfffe
	s_or_b32 exec_lo, exec_lo, s34
	; wave barrier
	s_wait_loadcnt_dscnt 0x0
	global_inv scope:SCOPE_SE
	s_and_saveexec_b32 s26, s0
	s_cbranch_execz .LBB25_26
; %bb.14:                               ;   in Loop: Header=BB25_4 Depth=1
	s_and_b32 vcc_lo, exec_lo, s30
	s_mov_b32 s1, -1
	s_wait_alu 0xfffe
	s_cbranch_vccz .LBB25_24
; %bb.15:                               ;   in Loop: Header=BB25_4 Depth=1
	ds_load_b64 v[5:6], v10
	s_wait_dscnt 0x0
	v_cmp_neq_f32_e32 vcc_lo, 0, v5
	v_cmp_neq_f32_e64 s1, 0, v6
	s_or_b32 s1, vcc_lo, s1
	s_wait_alu 0xfffe
	s_and_saveexec_b32 s27, s1
	s_wait_alu 0xfffe
	s_xor_b32 s1, exec_lo, s27
	s_cbranch_execz .LBB25_21
; %bb.16:                               ;   in Loop: Header=BB25_4 Depth=1
	v_cmp_ngt_f32_e64 s27, |v5|, |v6|
                                        ; implicit-def: $vgpr7
	s_and_saveexec_b32 s34, s27
	s_wait_alu 0xfffe
	s_xor_b32 s27, exec_lo, s34
	s_cbranch_execz .LBB25_18
; %bb.17:                               ;   in Loop: Header=BB25_4 Depth=1
	v_div_scale_f32 v7, null, v6, v6, v5
	v_div_scale_f32 v20, vcc_lo, v5, v6, v5
	s_delay_alu instid0(VALU_DEP_2) | instskip(NEXT) | instid1(TRANS32_DEP_1)
	v_rcp_f32_e32 v8, v7
	v_fma_f32 v19, -v7, v8, 1.0
	s_delay_alu instid0(VALU_DEP_1) | instskip(NEXT) | instid1(VALU_DEP_1)
	v_fmac_f32_e32 v8, v19, v8
	v_mul_f32_e32 v19, v20, v8
	s_delay_alu instid0(VALU_DEP_1) | instskip(NEXT) | instid1(VALU_DEP_1)
	v_fma_f32 v21, -v7, v19, v20
	v_fmac_f32_e32 v19, v21, v8
	s_delay_alu instid0(VALU_DEP_1) | instskip(SKIP_1) | instid1(VALU_DEP_1)
	v_fma_f32 v7, -v7, v19, v20
	s_wait_alu 0xfffd
	v_div_fmas_f32 v7, v7, v8, v19
	s_delay_alu instid0(VALU_DEP_1) | instskip(NEXT) | instid1(VALU_DEP_1)
	v_div_fixup_f32 v7, v7, v6, v5
	v_fmac_f32_e32 v6, v5, v7
	s_delay_alu instid0(VALU_DEP_1) | instskip(SKIP_1) | instid1(VALU_DEP_2)
	v_div_scale_f32 v5, null, v6, v6, 1.0
	v_div_scale_f32 v20, vcc_lo, 1.0, v6, 1.0
	v_rcp_f32_e32 v8, v5
	s_delay_alu instid0(TRANS32_DEP_1) | instskip(NEXT) | instid1(VALU_DEP_1)
	v_fma_f32 v19, -v5, v8, 1.0
	v_fmac_f32_e32 v8, v19, v8
	s_delay_alu instid0(VALU_DEP_1) | instskip(NEXT) | instid1(VALU_DEP_1)
	v_mul_f32_e32 v19, v20, v8
	v_fma_f32 v21, -v5, v19, v20
	s_delay_alu instid0(VALU_DEP_1) | instskip(NEXT) | instid1(VALU_DEP_1)
	v_fmac_f32_e32 v19, v21, v8
	v_fma_f32 v5, -v5, v19, v20
	s_wait_alu 0xfffd
	s_delay_alu instid0(VALU_DEP_1) | instskip(NEXT) | instid1(VALU_DEP_1)
	v_div_fmas_f32 v5, v5, v8, v19
	v_div_fixup_f32 v5, v5, v6, 1.0
	s_delay_alu instid0(VALU_DEP_1)
	v_mul_f32_e32 v7, v7, v5
	v_xor_b32_e32 v8, 0x80000000, v5
                                        ; implicit-def: $vgpr5_vgpr6
.LBB25_18:                              ;   in Loop: Header=BB25_4 Depth=1
	s_wait_alu 0xfffe
	s_and_not1_saveexec_b32 s27, s27
	s_cbranch_execz .LBB25_20
; %bb.19:                               ;   in Loop: Header=BB25_4 Depth=1
	v_div_scale_f32 v7, null, v5, v5, v6
	v_div_scale_f32 v20, vcc_lo, v6, v5, v6
	s_delay_alu instid0(VALU_DEP_2) | instskip(NEXT) | instid1(TRANS32_DEP_1)
	v_rcp_f32_e32 v8, v7
	v_fma_f32 v19, -v7, v8, 1.0
	s_delay_alu instid0(VALU_DEP_1) | instskip(NEXT) | instid1(VALU_DEP_1)
	v_fmac_f32_e32 v8, v19, v8
	v_mul_f32_e32 v19, v20, v8
	s_delay_alu instid0(VALU_DEP_1) | instskip(NEXT) | instid1(VALU_DEP_1)
	v_fma_f32 v21, -v7, v19, v20
	v_fmac_f32_e32 v19, v21, v8
	s_delay_alu instid0(VALU_DEP_1) | instskip(SKIP_1) | instid1(VALU_DEP_1)
	v_fma_f32 v7, -v7, v19, v20
	s_wait_alu 0xfffd
	v_div_fmas_f32 v7, v7, v8, v19
	s_delay_alu instid0(VALU_DEP_1) | instskip(NEXT) | instid1(VALU_DEP_1)
	v_div_fixup_f32 v8, v7, v5, v6
	v_fmac_f32_e32 v5, v6, v8
	s_delay_alu instid0(VALU_DEP_1) | instskip(NEXT) | instid1(VALU_DEP_1)
	v_div_scale_f32 v6, null, v5, v5, 1.0
	v_rcp_f32_e32 v7, v6
	s_delay_alu instid0(TRANS32_DEP_1) | instskip(NEXT) | instid1(VALU_DEP_1)
	v_fma_f32 v19, -v6, v7, 1.0
	v_fmac_f32_e32 v7, v19, v7
	v_div_scale_f32 v19, vcc_lo, 1.0, v5, 1.0
	s_delay_alu instid0(VALU_DEP_1) | instskip(NEXT) | instid1(VALU_DEP_1)
	v_mul_f32_e32 v20, v19, v7
	v_fma_f32 v21, -v6, v20, v19
	s_delay_alu instid0(VALU_DEP_1) | instskip(NEXT) | instid1(VALU_DEP_1)
	v_fmac_f32_e32 v20, v21, v7
	v_fma_f32 v6, -v6, v20, v19
	s_wait_alu 0xfffd
	s_delay_alu instid0(VALU_DEP_1) | instskip(NEXT) | instid1(VALU_DEP_1)
	v_div_fmas_f32 v6, v6, v7, v20
	v_div_fixup_f32 v7, v6, v5, 1.0
	s_delay_alu instid0(VALU_DEP_1)
	v_mul_f32_e64 v8, v8, -v7
.LBB25_20:                              ;   in Loop: Header=BB25_4 Depth=1
	s_wait_alu 0xfffe
	s_or_b32 exec_lo, exec_lo, s27
	ds_store_b64 v10, v[7:8]
.LBB25_21:                              ;   in Loop: Header=BB25_4 Depth=1
	s_wait_alu 0xfffe
	s_and_not1_saveexec_b32 s1, s1
; %bb.22:                               ;   in Loop: Header=BB25_4 Depth=1
	ds_store_b64 v10, v[1:2]
; %bb.23:                               ;   in Loop: Header=BB25_4 Depth=1
	s_wait_alu 0xfffe
	s_or_b32 exec_lo, exec_lo, s1
	s_mov_b32 s1, 0
.LBB25_24:                              ;   in Loop: Header=BB25_4 Depth=1
	s_wait_alu 0xfffe
	s_and_not1_b32 vcc_lo, exec_lo, s1
	s_wait_alu 0xfffe
	s_cbranch_vccnz .LBB25_26
; %bb.25:                               ;   in Loop: Header=BB25_4 Depth=1
	ds_store_b64 v10, v[1:2]
.LBB25_26:                              ;   in Loop: Header=BB25_4 Depth=1
	s_wait_alu 0xfffe
	s_or_b32 exec_lo, exec_lo, s26
	v_mov_b32_e32 v5, v15
	s_mov_b32 s1, 0
	s_mov_b32 s26, 8
	; wave barrier
	s_wait_loadcnt_dscnt 0x0
	global_inv scope:SCOPE_SE
	s_branch .LBB25_28
.LBB25_27:                              ;   in Loop: Header=BB25_28 Depth=2
	v_add_nc_u32_e32 v5, s31, v5
	s_add_co_i32 s26, s26, s33
	s_cmp_eq_u32 s1, s14
	s_wait_loadcnt 0x0
	; wave barrier
	global_inv scope:SCOPE_SE
	s_cbranch_scc1 .LBB25_37
.LBB25_28:                              ;   Parent Loop BB25_4 Depth=1
                                        ; =>  This Loop Header: Depth=2
                                        ;       Child Loop BB25_33 Depth 3
	v_dual_mov_b32 v6, 0 :: v_dual_mov_b32 v7, 0
	s_wait_alu 0xfffe
	s_mul_i32 s27, s1, s14
	s_mov_b32 s34, exec_lo
	v_cmpx_lt_u32_e64 s1, v0
	s_cbranch_execz .LBB25_30
; %bb.29:                               ;   in Loop: Header=BB25_28 Depth=2
	s_wait_alu 0xfffe
	s_lshl_b32 s35, s27, 3
	s_lshl_b32 s36, s1, 3
	s_wait_alu 0xfffe
	v_add_nc_u32_e32 v6, s35, v9
	s_add_co_i32 s36, s36, s35
	s_wait_alu 0xfffe
	v_mov_b32_e32 v8, s36
	ds_load_b64 v[6:7], v6
	ds_load_b64 v[19:20], v8
	s_wait_dscnt 0x0
	v_mul_f32_e32 v8, v20, v7
	v_mul_f32_e32 v7, v19, v7
	s_delay_alu instid0(VALU_DEP_2) | instskip(NEXT) | instid1(VALU_DEP_1)
	v_fma_f32 v8, v19, v6, -v8
	v_dual_fmac_f32 v7, v20, v6 :: v_dual_add_f32 v6, 0, v8
	s_delay_alu instid0(VALU_DEP_1)
	v_add_f32_e32 v7, 0, v7
.LBB25_30:                              ;   in Loop: Header=BB25_28 Depth=2
	s_wait_alu 0xfffe
	s_or_b32 exec_lo, exec_lo, s34
	s_add_co_i32 s1, s1, 1
	s_wait_loadcnt 0x0
	s_wait_alu 0xfffe
	s_cmp_ge_i32 s1, s14
	; wave barrier
	global_inv scope:SCOPE_SE
	s_cbranch_scc1 .LBB25_27
; %bb.31:                               ;   in Loop: Header=BB25_28 Depth=2
	v_lshl_add_u32 v8, s27, 3, v9
	v_mov_b32_e32 v19, v5
	s_mov_b32 s27, s26
	s_mov_b32 s34, s1
	s_branch .LBB25_33
.LBB25_32:                              ;   in Loop: Header=BB25_33 Depth=3
	s_wait_alu 0xfffe
	s_or_b32 exec_lo, exec_lo, s35
	v_add_nc_u32_e32 v19, s31, v19
	s_add_co_i32 s34, s34, 1
	s_add_co_i32 s27, s27, 8
	s_wait_alu 0xfffe
	s_cmp_eq_u32 s14, s34
	s_wait_loadcnt 0x0
	; wave barrier
	global_inv scope:SCOPE_SE
	s_cbranch_scc1 .LBB25_27
.LBB25_33:                              ;   Parent Loop BB25_4 Depth=1
                                        ;     Parent Loop BB25_28 Depth=2
                                        ; =>    This Inner Loop Header: Depth=3
	s_mov_b32 s35, exec_lo
	s_wait_alu 0xfffe
	v_cmpx_eq_u32_e64 s34, v0
	s_cbranch_execz .LBB25_35
; %bb.34:                               ;   in Loop: Header=BB25_33 Depth=3
	ds_load_b64 v[20:21], v10
	s_wait_dscnt 0x0
	v_dual_sub_f32 v23, 0, v6 :: v_dual_mul_f32 v22, v7, v21
	v_mul_f32_e32 v24, v7, v20
	s_delay_alu instid0(VALU_DEP_2) | instskip(NEXT) | instid1(VALU_DEP_2)
	v_fmac_f32_e32 v22, v23, v20
	v_fma_f32 v23, -v6, v21, -v24
	ds_store_b64 v8, v[22:23]
.LBB25_35:                              ;   in Loop: Header=BB25_33 Depth=3
	s_or_b32 exec_lo, exec_lo, s35
	s_delay_alu instid0(SALU_CYCLE_1)
	s_mov_b32 s35, exec_lo
	; wave barrier
	s_wait_loadcnt_dscnt 0x0
	global_inv scope:SCOPE_SE
	v_cmpx_lt_u32_e64 s34, v0
	s_cbranch_execz .LBB25_32
; %bb.36:                               ;   in Loop: Header=BB25_33 Depth=3
	v_mov_b32_e32 v22, s27
	ds_load_b64 v[20:21], v19
	ds_load_b64 v[22:23], v22
	s_wait_dscnt 0x0
	v_mul_f32_e32 v24, v23, v21
	v_mul_f32_e32 v21, v22, v21
	s_delay_alu instid0(VALU_DEP_2) | instskip(NEXT) | instid1(VALU_DEP_1)
	v_fma_f32 v22, v22, v20, -v24
	v_dual_fmac_f32 v21, v23, v20 :: v_dual_add_f32 v6, v6, v22
	s_delay_alu instid0(VALU_DEP_1)
	v_add_f32_e32 v7, v7, v21
	s_branch .LBB25_32
.LBB25_37:                              ;   in Loop: Header=BB25_4 Depth=1
	s_and_saveexec_b32 s26, s0
	s_cbranch_execz .LBB25_2
; %bb.38:                               ;   in Loop: Header=BB25_4 Depth=1
	s_and_not1_b32 vcc_lo, exec_lo, s29
	s_mov_b32 s1, -1
	s_wait_alu 0xfffe
	s_cbranch_vccnz .LBB25_42
; %bb.39:                               ;   in Loop: Header=BB25_4 Depth=1
	v_add_co_u32 v5, vcc_lo, v3, v16
	s_wait_alu 0xfffd
	v_add_co_ci_u32_e64 v6, null, v4, v17, vcc_lo
	v_mov_b32_e32 v7, v11
	s_mov_b32 s27, 0
	s_mov_b32 s34, s14
.LBB25_40:                              ;   Parent Loop BB25_4 Depth=1
                                        ; =>  This Inner Loop Header: Depth=2
	ds_load_b64 v[19:20], v7
	s_wait_alu 0xfffe
	s_add_co_i32 s34, s34, -1
	v_add_nc_u32_e32 v7, s31, v7
	s_wait_alu 0xfffe
	v_cmp_le_u32_e32 vcc_lo, s34, v0
	s_or_b32 s27, vcc_lo, s27
	s_wait_dscnt 0x0
	flat_store_b64 v[5:6], v[19:20]
	v_add_co_u32 v5, s1, v5, s24
	s_wait_alu 0xf1ff
	v_add_co_ci_u32_e64 v6, null, s25, v6, s1
	s_wait_alu 0xfffe
	s_and_not1_b32 exec_lo, exec_lo, s27
	s_cbranch_execnz .LBB25_40
; %bb.41:                               ;   in Loop: Header=BB25_4 Depth=1
	s_or_b32 exec_lo, exec_lo, s27
	s_mov_b32 s1, 0
.LBB25_42:                              ;   in Loop: Header=BB25_4 Depth=1
	s_wait_alu 0xfffe
	s_and_b32 vcc_lo, exec_lo, s1
	s_wait_alu 0xfffe
	s_cbranch_vccz .LBB25_2
; %bb.43:                               ;   in Loop: Header=BB25_4 Depth=1
	v_add_co_u32 v3, vcc_lo, v3, s16
	s_wait_alu 0xfffd
	v_add_co_ci_u32_e64 v4, null, s17, v4, vcc_lo
	v_dual_mov_b32 v5, v9 :: v_dual_mov_b32 v6, v14
	s_delay_alu instid0(VALU_DEP_3) | instskip(SKIP_1) | instid1(VALU_DEP_3)
	v_add_co_u32 v3, vcc_lo, v3, s20
	s_wait_alu 0xfffd
	v_add_co_ci_u32_e64 v4, null, s21, v4, vcc_lo
	s_mov_b32 s27, 0
	v_add_co_u32 v3, vcc_lo, v3, v18
	s_wait_alu 0xfffd
	v_add_co_ci_u32_e64 v4, null, 0, v4, vcc_lo
.LBB25_44:                              ;   Parent Loop BB25_4 Depth=1
                                        ; =>  This Inner Loop Header: Depth=2
	ds_load_b64 v[7:8], v5
	v_add_nc_u32_e32 v6, -1, v6
	v_add_nc_u32_e32 v5, s31, v5
	s_delay_alu instid0(VALU_DEP_2)
	v_cmp_eq_u32_e32 vcc_lo, 0, v6
	s_wait_alu 0xfffe
	s_or_b32 s27, vcc_lo, s27
	s_wait_dscnt 0x0
	flat_store_b64 v[3:4], v[7:8]
	v_add_co_u32 v3, s1, v3, s22
	s_wait_alu 0xf1ff
	v_add_co_ci_u32_e64 v4, null, s23, v4, s1
	s_wait_alu 0xfffe
	s_and_not1_b32 exec_lo, exec_lo, s27
	s_cbranch_execnz .LBB25_44
	s_branch .LBB25_2
.LBB25_45:
	s_endpgm
	.section	.rodata,"a",@progbits
	.p2align	6, 0x0
	.amdhsa_kernel _ZL26rocblas_trtri_small_kernelILi16E19rocblas_complex_numIfEPKPKS1_PKPS1_Ev13rocblas_fill_17rocblas_diagonal_iT1_lillT2_lilli
		.amdhsa_group_segment_fixed_size 2048
		.amdhsa_private_segment_fixed_size 0
		.amdhsa_kernarg_size 100
		.amdhsa_user_sgpr_count 2
		.amdhsa_user_sgpr_dispatch_ptr 0
		.amdhsa_user_sgpr_queue_ptr 0
		.amdhsa_user_sgpr_kernarg_segment_ptr 1
		.amdhsa_user_sgpr_dispatch_id 0
		.amdhsa_user_sgpr_private_segment_size 0
		.amdhsa_wavefront_size32 1
		.amdhsa_uses_dynamic_stack 0
		.amdhsa_enable_private_segment 0
		.amdhsa_system_sgpr_workgroup_id_x 1
		.amdhsa_system_sgpr_workgroup_id_y 0
		.amdhsa_system_sgpr_workgroup_id_z 1
		.amdhsa_system_sgpr_workgroup_info 0
		.amdhsa_system_vgpr_workitem_id 0
		.amdhsa_next_free_vgpr 25
		.amdhsa_next_free_sgpr 37
		.amdhsa_reserve_vcc 1
		.amdhsa_float_round_mode_32 0
		.amdhsa_float_round_mode_16_64 0
		.amdhsa_float_denorm_mode_32 3
		.amdhsa_float_denorm_mode_16_64 3
		.amdhsa_fp16_overflow 0
		.amdhsa_workgroup_processor_mode 1
		.amdhsa_memory_ordered 1
		.amdhsa_forward_progress 1
		.amdhsa_inst_pref_size 17
		.amdhsa_round_robin_scheduling 0
		.amdhsa_exception_fp_ieee_invalid_op 0
		.amdhsa_exception_fp_denorm_src 0
		.amdhsa_exception_fp_ieee_div_zero 0
		.amdhsa_exception_fp_ieee_overflow 0
		.amdhsa_exception_fp_ieee_underflow 0
		.amdhsa_exception_fp_ieee_inexact 0
		.amdhsa_exception_int_div_zero 0
	.end_amdhsa_kernel
	.section	.text._ZL26rocblas_trtri_small_kernelILi16E19rocblas_complex_numIfEPKPKS1_PKPS1_Ev13rocblas_fill_17rocblas_diagonal_iT1_lillT2_lilli,"axG",@progbits,_ZL26rocblas_trtri_small_kernelILi16E19rocblas_complex_numIfEPKPKS1_PKPS1_Ev13rocblas_fill_17rocblas_diagonal_iT1_lillT2_lilli,comdat
.Lfunc_end25:
	.size	_ZL26rocblas_trtri_small_kernelILi16E19rocblas_complex_numIfEPKPKS1_PKPS1_Ev13rocblas_fill_17rocblas_diagonal_iT1_lillT2_lilli, .Lfunc_end25-_ZL26rocblas_trtri_small_kernelILi16E19rocblas_complex_numIfEPKPKS1_PKPS1_Ev13rocblas_fill_17rocblas_diagonal_iT1_lillT2_lilli
                                        ; -- End function
	.set _ZL26rocblas_trtri_small_kernelILi16E19rocblas_complex_numIfEPKPKS1_PKPS1_Ev13rocblas_fill_17rocblas_diagonal_iT1_lillT2_lilli.num_vgpr, 25
	.set _ZL26rocblas_trtri_small_kernelILi16E19rocblas_complex_numIfEPKPKS1_PKPS1_Ev13rocblas_fill_17rocblas_diagonal_iT1_lillT2_lilli.num_agpr, 0
	.set _ZL26rocblas_trtri_small_kernelILi16E19rocblas_complex_numIfEPKPKS1_PKPS1_Ev13rocblas_fill_17rocblas_diagonal_iT1_lillT2_lilli.numbered_sgpr, 37
	.set _ZL26rocblas_trtri_small_kernelILi16E19rocblas_complex_numIfEPKPKS1_PKPS1_Ev13rocblas_fill_17rocblas_diagonal_iT1_lillT2_lilli.num_named_barrier, 0
	.set _ZL26rocblas_trtri_small_kernelILi16E19rocblas_complex_numIfEPKPKS1_PKPS1_Ev13rocblas_fill_17rocblas_diagonal_iT1_lillT2_lilli.private_seg_size, 0
	.set _ZL26rocblas_trtri_small_kernelILi16E19rocblas_complex_numIfEPKPKS1_PKPS1_Ev13rocblas_fill_17rocblas_diagonal_iT1_lillT2_lilli.uses_vcc, 1
	.set _ZL26rocblas_trtri_small_kernelILi16E19rocblas_complex_numIfEPKPKS1_PKPS1_Ev13rocblas_fill_17rocblas_diagonal_iT1_lillT2_lilli.uses_flat_scratch, 0
	.set _ZL26rocblas_trtri_small_kernelILi16E19rocblas_complex_numIfEPKPKS1_PKPS1_Ev13rocblas_fill_17rocblas_diagonal_iT1_lillT2_lilli.has_dyn_sized_stack, 0
	.set _ZL26rocblas_trtri_small_kernelILi16E19rocblas_complex_numIfEPKPKS1_PKPS1_Ev13rocblas_fill_17rocblas_diagonal_iT1_lillT2_lilli.has_recursion, 0
	.set _ZL26rocblas_trtri_small_kernelILi16E19rocblas_complex_numIfEPKPKS1_PKPS1_Ev13rocblas_fill_17rocblas_diagonal_iT1_lillT2_lilli.has_indirect_call, 0
	.section	.AMDGPU.csdata,"",@progbits
; Kernel info:
; codeLenInByte = 2156
; TotalNumSgprs: 39
; NumVgprs: 25
; ScratchSize: 0
; MemoryBound: 0
; FloatMode: 240
; IeeeMode: 1
; LDSByteSize: 2048 bytes/workgroup (compile time only)
; SGPRBlocks: 0
; VGPRBlocks: 3
; NumSGPRsForWavesPerEU: 39
; NumVGPRsForWavesPerEU: 25
; Occupancy: 16
; WaveLimiterHint : 0
; COMPUTE_PGM_RSRC2:SCRATCH_EN: 0
; COMPUTE_PGM_RSRC2:USER_SGPR: 2
; COMPUTE_PGM_RSRC2:TRAP_HANDLER: 0
; COMPUTE_PGM_RSRC2:TGID_X_EN: 1
; COMPUTE_PGM_RSRC2:TGID_Y_EN: 0
; COMPUTE_PGM_RSRC2:TGID_Z_EN: 1
; COMPUTE_PGM_RSRC2:TIDIG_COMP_CNT: 0
	.section	.text._ZL29rocblas_trtri_diagonal_kernelILi16E19rocblas_complex_numIfEPKPKS1_PKPS1_Ev13rocblas_fill_17rocblas_diagonal_iT1_lillT2_lilli,"axG",@progbits,_ZL29rocblas_trtri_diagonal_kernelILi16E19rocblas_complex_numIfEPKPKS1_PKPS1_Ev13rocblas_fill_17rocblas_diagonal_iT1_lillT2_lilli,comdat
	.globl	_ZL29rocblas_trtri_diagonal_kernelILi16E19rocblas_complex_numIfEPKPKS1_PKPS1_Ev13rocblas_fill_17rocblas_diagonal_iT1_lillT2_lilli ; -- Begin function _ZL29rocblas_trtri_diagonal_kernelILi16E19rocblas_complex_numIfEPKPKS1_PKPS1_Ev13rocblas_fill_17rocblas_diagonal_iT1_lillT2_lilli
	.p2align	8
	.type	_ZL29rocblas_trtri_diagonal_kernelILi16E19rocblas_complex_numIfEPKPKS1_PKPS1_Ev13rocblas_fill_17rocblas_diagonal_iT1_lillT2_lilli,@function
_ZL29rocblas_trtri_diagonal_kernelILi16E19rocblas_complex_numIfEPKPKS1_PKPS1_Ev13rocblas_fill_17rocblas_diagonal_iT1_lillT2_lilli: ; @_ZL29rocblas_trtri_diagonal_kernelILi16E19rocblas_complex_numIfEPKPKS1_PKPS1_Ev13rocblas_fill_17rocblas_diagonal_iT1_lillT2_lilli
; %bb.0:
	s_load_b32 s33, s[0:1], 0x60
	s_lshr_b32 s20, ttmp7, 16
	s_wait_kmcnt 0x0
	s_cmp_ge_u32 s20, s33
	s_cbranch_scc1 .LBB26_92
; %bb.1:
	s_clause 0x5
	s_load_b96 s[4:6], s[0:1], 0x0
	s_load_b128 s[8:11], s[0:1], 0x10
	s_load_b32 s30, s[0:1], 0x20
	s_load_b128 s[12:15], s[0:1], 0x30
	s_load_b96 s[16:18], s[0:1], 0x40
	s_load_b64 s[0:1], s[0:1], 0x58
	s_mov_b32 s21, 0
	v_cvt_f32_ubyte0_e32 v2, v0
	s_mov_b32 s27, s21
	s_mov_b32 s23, s21
	;; [unrolled: 1-line block ×3, first 2 shown]
	v_lshlrev_b32_e32 v12, 3, v0
	s_wait_kmcnt 0x0
	s_ashr_i32 s2, s6, 31
	s_ashr_i32 s31, s30, 31
	s_lshr_b32 s2, s2, 27
	s_ashr_i32 s39, s18, 31
	s_add_co_i32 s2, s6, s2
	s_lshl_b64 s[28:29], s[30:31], 5
	s_ashr_i32 s2, s2, 5
	s_mov_b32 s38, s18
	s_cvt_f32_u32 s3, s2
	s_add_nc_u64 s[28:29], s[28:29], 32
	s_delay_alu instid0(SALU_CYCLE_2) | instskip(NEXT) | instid1(TRANS32_DEP_1)
	v_rcp_iflag_f32_e32 v1, s3
	v_readfirstlane_b32 s3, v1
	v_mov_b32_e32 v1, 0
	s_mul_f32 s7, s3, 0x4f7ffffe
	s_mov_b32 s3, s21
	s_delay_alu instid0(SALU_CYCLE_2) | instskip(SKIP_1) | instid1(SALU_CYCLE_2)
	s_cvt_u32_f32 s19, s7
	s_sub_co_i32 s7, 0, s2
	s_mul_i32 s22, s7, s19
	s_mov_b32 s7, s21
	s_mul_hi_u32 s22, s19, s22
	s_delay_alu instid0(SALU_CYCLE_1) | instskip(NEXT) | instid1(SALU_CYCLE_1)
	s_add_co_i32 s19, s19, s22
	s_mul_hi_u32 s19, ttmp9, s19
	s_delay_alu instid0(SALU_CYCLE_1) | instskip(SKIP_2) | instid1(SALU_CYCLE_1)
	s_mul_i32 s22, s19, s2
	s_add_co_i32 s24, s19, 1
	s_sub_co_i32 s22, ttmp9, s22
	s_sub_co_i32 s26, s22, s2
	s_cmp_ge_u32 s22, s2
	s_cselect_b32 s19, s24, s19
	s_cselect_b32 s22, s26, s22
	s_add_co_i32 s24, s19, 1
	s_cmp_ge_u32 s22, s2
	s_cselect_b32 s26, s24, s19
	s_lshl_b64 s[34:35], s[38:39], 5
	s_mul_i32 s2, s26, s2
	s_mul_u64 s[40:41], s[12:13], s[26:27]
	s_wait_alu 0xfffe
	s_sub_co_i32 s2, ttmp9, s2
	s_add_nc_u64 s[12:13], s[34:35], 32
	s_mul_u64 s[34:35], s[0:1], s[26:27]
	s_wait_alu 0xfffe
	s_lshl_b32 s0, s2, 4
	s_mul_u64 s[28:29], s[28:29], s[2:3]
	s_sub_co_i32 s1, s6, s0
	s_mul_u64 s[36:37], s[12:13], s[2:3]
	s_min_u32 s22, s1, 16
	s_cmp_lg_u32 s6, s0
	v_cvt_f32_ubyte0_e32 v8, s22
	s_cselect_b32 s42, -1, 0
	s_lshl_b32 s19, s22, 1
	v_dual_mov_b32 v3, v1 :: v_dual_mov_b32 v4, s22
	s_delay_alu instid0(VALU_DEP_2)
	v_rcp_iflag_f32_e32 v9, v8
	v_cmp_gt_u32_e64 s2, s19, v0
	s_cmp_lg_u32 s4, 0x7a
	v_cmp_gt_u32_e32 vcc_lo, s22, v0
	s_mul_u64 s[26:27], s[22:23], s[30:31]
	s_cselect_b32 s43, -1, 0
	v_cndmask_b32_e64 v5, 0, 0x1800, s2
	v_cndmask_b32_e64 v10, s19, v4, s2
	s_cmp_lg_u32 s5, 0x84
	s_add_nc_u64 s[4:5], s[26:27], s[22:23]
	v_mul_f32_e32 v9, v2, v9
	s_cselect_b32 s44, -1, 0
	s_add_co_i32 s6, s22, -1
	s_lshl_b32 s24, s22, 3
	v_cndmask_b32_e64 v18, v5, 0x1000, vcc_lo
	v_trunc_f32_e32 v9, v9
	v_cndmask_b32_e64 v5, s5, 0, vcc_lo
	v_cndmask_b32_e64 v4, s4, 0, vcc_lo
	s_lshl_b64 s[4:5], s[6:7], 3
	v_cndmask_b32_e64 v13, v10, 0, vcc_lo
	v_fma_f32 v10, -v9, v8, v2
	s_mul_u64 s[12:13], s[22:23], s[38:39]
	s_lshl_b64 s[26:27], s[40:41], 3
	s_lshl_b64 s[28:29], s[28:29], 3
	s_wait_alu 0xfffe
	s_add_nc_u64 s[4:5], s[24:25], s[4:5]
	s_add_nc_u64 s[46:47], s[12:13], s[22:23]
	;; [unrolled: 1-line block ×3, first 2 shown]
	s_wait_alu 0xfffe
	s_mul_u64 s[4:5], s[4:5], s[30:31]
	v_cndmask_b32_e64 v7, s47, 0, vcc_lo
	v_cndmask_b32_e64 v6, s46, 0, vcc_lo
	v_cvt_u32_f32_e32 v9, v9
	v_cmp_ge_f32_e64 vcc_lo, |v10|, v8
	s_lshl_b64 s[10:11], s[10:11], 3
	s_wait_alu 0xfffe
	s_add_nc_u64 s[4:5], s[40:41], s[4:5]
	v_cmp_le_u32_e64 s3, s19, v0
	s_wait_alu 0xfffe
	s_add_nc_u64 s[4:5], s[4:5], s[10:11]
	s_mul_i32 s19, s22, s6
	s_mul_u64 s[6:7], s[30:31], s[6:7]
	v_lshlrev_b32_e32 v14, 3, v13
	s_wait_alu 0xfffd
	v_add_co_ci_u32_e64 v10, null, 0, v9, vcc_lo
	s_wait_alu 0xfffe
	v_add_co_u32 v9, s4, s4, v12
	s_lshl_b64 s[6:7], s[6:7], 3
	v_lshlrev_b64_e32 v[4:5], 3, v[4:5]
	s_wait_alu 0xf1ff
	v_add_co_ci_u32_e64 v15, null, s5, 0, s4
	s_add_nc_u64 s[6:7], s[40:41], s[6:7]
	v_sub_co_u32 v20, vcc_lo, v9, v14
	s_add_nc_u64 s[48:49], s[10:11], s[6:7]
	s_wait_alu 0xfffd
	v_subrev_co_ci_u32_e64 v21, null, 0, v15, vcc_lo
	v_add_co_u32 v27, vcc_lo, s48, v4
	s_wait_alu 0xfffd
	v_add_co_ci_u32_e64 v28, null, s49, v5, vcc_lo
	v_mul_lo_u16 v16, v10, s22
	s_delay_alu instid0(VALU_DEP_3) | instskip(SKIP_1) | instid1(VALU_DEP_3)
	v_add_co_u32 v27, vcc_lo, v27, v12
	s_wait_alu 0xfffd
	v_add_co_ci_u32_e64 v28, null, 0, v28, vcc_lo
	s_mul_i32 s0, s22, 3
	v_sub_co_u32 v27, vcc_lo, v27, v14
	s_wait_alu 0xfffd
	v_subrev_co_ci_u32_e64 v28, null, 0, v28, vcc_lo
	s_mul_i32 s1, s22, s22
	v_add_co_u32 v27, vcc_lo, v27, 4
	s_add_nc_u64 s[40:41], s[10:11], s[40:41]
	v_cmp_gt_u32_e64 s0, s0, v0
	v_cmp_gt_u32_e64 s1, s1, v0
	v_sub_nc_u32_e32 v2, v0, v13
	v_sub_nc_u16 v0, v0, v16
	s_wait_alu 0xfffd
	v_add_co_ci_u32_e64 v28, null, 0, v28, vcc_lo
	v_add_co_u32 v4, vcc_lo, s40, v4
	s_delay_alu instid0(VALU_DEP_3) | instskip(SKIP_2) | instid1(VALU_DEP_3)
	v_and_b32_e32 v23, 0xffff, v0
	s_wait_alu 0xfffd
	v_add_co_ci_u32_e64 v5, null, s41, v5, vcc_lo
	v_add_co_u32 v4, vcc_lo, v4, v12
	s_delay_alu instid0(VALU_DEP_3) | instskip(SKIP_1) | instid1(VALU_DEP_3)
	v_lshlrev_b32_e32 v26, 3, v23
	s_wait_alu 0xfffd
	v_add_co_ci_u32_e64 v5, null, 0, v5, vcc_lo
	s_delay_alu instid0(VALU_DEP_3) | instskip(SKIP_3) | instid1(VALU_DEP_3)
	v_sub_co_u32 v4, vcc_lo, v4, v14
	v_add_lshl_u32 v13, v13, s22, 3
	s_add_nc_u64 s[40:41], s[22:23], -1
	v_add_nc_u32_e32 v29, s24, v12
	v_or_b32_e32 v31, 4, v4
	v_sub_nc_u32_e32 v4, s24, v26
	v_sub_nc_u32_e32 v13, v13, v12
	v_and_b32_e32 v22, 0xffff, v10
	s_wait_alu 0xfffe
	s_mul_u64 s[40:41], s[40:41], s[38:39]
	s_lshl_b64 s[34:35], s[34:35], 3
	v_mul_lo_u32 v4, s22, v4
	s_wait_alu 0xfffe
	s_lshl_b64 s[40:41], s[40:41], 3
	v_sub_nc_u32_e32 v32, v29, v14
	v_add3_u32 v29, v13, v18, -8
	s_wait_alu 0xfffd
	v_subrev_co_ci_u32_e64 v30, null, 0, v5, vcc_lo
	s_wait_alu 0xfffe
	s_add_nc_u64 s[40:41], s[40:41], s[34:35]
	s_lshl_b64 s[36:37], s[36:37], 3
	v_sub_nc_u32_e32 v13, v4, v26
	v_lshlrev_b64_e32 v[4:5], 3, v[6:7]
	v_mul_u32_u24_e32 v0, s22, v22
	v_lshl_add_u32 v11, s19, 3, v12
	s_wait_alu 0xfffe
	s_add_nc_u64 s[40:41], s[40:41], s[36:37]
	s_lshl_b64 s[16:17], s[16:17], 3
	s_add_co_i32 s45, s22, 1
	s_wait_alu 0xfffe
	s_add_nc_u64 s[40:41], s[16:17], s[40:41]
	v_lshlrev_b32_e32 v0, 3, v0
	s_wait_alu 0xfffe
	v_add_co_u32 v6, vcc_lo, s40, v4
	v_sub_nc_u32_e32 v11, v11, v14
	v_add_nc_u32_e32 v8, s22, v2
	s_wait_alu 0xfffd
	v_add_co_ci_u32_e64 v7, null, s41, v5, vcc_lo
	v_mul_i32_i24_e32 v17, s45, v2
	v_add3_u32 v39, v0, v26, 0x800
	v_add_nc_u32_e32 v41, 0x800, v0
	v_add_co_u32 v0, vcc_lo, v6, v12
	v_add_nc_u32_e32 v25, v18, v11
	v_cmp_gt_u16_e64 s6, 16, v10
	v_mad_co_i64_i32 v[10:11], null, v22, s18, 0
	v_ashrrev_i32_e32 v9, 31, v8
	s_wait_alu 0xfffd
	v_add_co_ci_u32_e64 v6, null, 0, v7, vcc_lo
	v_lshl_add_u32 v24, v17, 3, v18
	v_lshlrev_b32_e32 v15, 7, v22
	v_add_nc_u32_e32 v17, 0x800, v26
	v_sub_co_u32 v43, vcc_lo, v0, v14
	v_mov_b32_e32 v0, 1.0
	v_add_nc_u32_e32 v16, s22, v23
	s_movk_i32 s7, 0x88
	s_wait_alu 0xfffd
	v_subrev_co_ci_u32_e64 v44, null, 0, v6, vcc_lo
	v_lshlrev_b64_e32 v[6:7], 3, v[8:9]
	v_lshlrev_b64_e32 v[8:9], 3, v[10:11]
	v_lshl_add_u32 v19, v2, 3, v18
	v_cmp_gt_i32_e64 s4, s22, v2
	v_cmp_lt_i32_e64 s5, -1, v2
	v_add_nc_u32_e32 v32, v18, v32
	v_or_b32_e32 v33, 8, v18
	v_sub_nc_u32_e32 v34, 0x1ff8, v15
	v_add_nc_u32_e32 v35, -1, v22
	v_mad_u32_u24 v36, v22, s7, 0x1000
	v_add_nc_u32_e32 v37, v15, v26
	v_add_nc_u32_e32 v38, -1, v23
	v_add_nc_u32_e32 v40, 0xff8, v13
	v_add_nc_u32_e32 v42, 0x1800, v26
	;; [unrolled: 1-line block ×3, first 2 shown]
	v_lshlrev_b32_e32 v46, 3, v23
	v_lshlrev_b32_e32 v47, 3, v16
	v_add_nc_u32_e32 v48, v17, v15
	s_lshl_b64 s[18:19], s[30:31], 3
	s_lshl_b64 s[38:39], s[38:39], 3
	s_sub_co_i32 s46, 0, s24
	s_wait_alu 0xfffe
	s_sub_nc_u64 s[30:31], 0, s[18:19]
	s_add_co_i32 s23, s24, 8
	s_sub_nc_u64 s[40:41], 0, s[38:39]
	s_branch .LBB26_4
.LBB26_2:                               ;   in Loop: Header=BB26_4 Depth=1
	s_wait_alu 0xfffe
	s_or_b32 exec_lo, exec_lo, s25
.LBB26_3:                               ;   in Loop: Header=BB26_4 Depth=1
	s_add_co_i32 s20, s20, 0x10000
	s_delay_alu instid0(SALU_CYCLE_1)
	s_cmp_lt_u32 s20, s33
	s_cbranch_scc0 .LBB26_92
.LBB26_4:                               ; =>This Loop Header: Depth=1
                                        ;     Child Loop BB26_9 Depth 2
                                        ;     Child Loop BB26_13 Depth 2
	;; [unrolled: 1-line block ×5, first 2 shown]
                                        ;       Child Loop BB26_48 Depth 3
                                        ;     Child Loop BB26_55 Depth 2
                                        ;     Child Loop BB26_62 Depth 2
	;; [unrolled: 1-line block ×6, first 2 shown]
	s_and_not1_b32 vcc_lo, exec_lo, s42
	s_wait_alu 0xfffe
	s_cbranch_vccnz .LBB26_3
; %bb.5:                                ;   in Loop: Header=BB26_4 Depth=1
	s_lshl_b64 s[48:49], s[20:21], 3
	s_wait_alu 0xfffe
	s_add_nc_u64 s[50:51], s[8:9], s[48:49]
	s_add_nc_u64 s[48:49], s[14:15], s[48:49]
	s_clause 0x1
	global_load_b64 v[12:13], v1, s[50:51]
	global_load_b64 v[10:11], v1, s[48:49]
	s_and_saveexec_b32 s7, s3
	s_wait_alu 0xfffe
	s_xor_b32 s7, exec_lo, s7
	s_cbranch_execz .LBB26_15
; %bb.6:                                ;   in Loop: Header=BB26_4 Depth=1
	s_and_saveexec_b32 s25, s0
	s_cbranch_execz .LBB26_14
; %bb.7:                                ;   in Loop: Header=BB26_4 Depth=1
	s_and_not1_b32 vcc_lo, exec_lo, s43
	s_mov_b32 s47, -1
	s_wait_alu 0xfffe
	s_cbranch_vccnz .LBB26_11
; %bb.8:                                ;   in Loop: Header=BB26_4 Depth=1
	s_wait_loadcnt 0x1
	v_add_co_u32 v14, vcc_lo, v12, v20
	s_wait_alu 0xfffd
	v_add_co_ci_u32_e64 v15, null, v13, v21, vcc_lo
	v_mov_b32_e32 v16, v25
	s_mov_b32 s47, s45
.LBB26_9:                               ;   Parent Loop BB26_4 Depth=1
                                        ; =>  This Inner Loop Header: Depth=2
	flat_load_b64 v[49:50], v[14:15]
	v_add_co_u32 v14, vcc_lo, v14, s30
	s_wait_alu 0xfffd
	v_add_co_ci_u32_e64 v15, null, s31, v15, vcc_lo
	s_wait_alu 0xfffe
	s_add_co_i32 s47, s47, -1
	s_wait_alu 0xfffe
	s_cmp_gt_u32 s47, 1
	s_wait_loadcnt_dscnt 0x0
	ds_store_b64 v16, v[49:50]
	v_add_nc_u32_e32 v16, s46, v16
	s_cbranch_scc1 .LBB26_9
; %bb.10:                               ;   in Loop: Header=BB26_4 Depth=1
	s_mov_b32 s47, 0
.LBB26_11:                              ;   in Loop: Header=BB26_4 Depth=1
	s_wait_alu 0xfffe
	s_and_b32 vcc_lo, exec_lo, s47
	s_wait_alu 0xfffe
	s_cbranch_vccz .LBB26_14
; %bb.12:                               ;   in Loop: Header=BB26_4 Depth=1
	s_wait_loadcnt 0x1
	v_add_co_u32 v12, vcc_lo, v12, s10
	s_wait_alu 0xfffd
	v_add_co_ci_u32_e64 v13, null, s11, v13, vcc_lo
	v_mov_b32_e32 v14, v19
	s_delay_alu instid0(VALU_DEP_3) | instskip(SKIP_1) | instid1(VALU_DEP_3)
	v_add_co_u32 v12, vcc_lo, v12, s28
	s_wait_alu 0xfffd
	v_add_co_ci_u32_e64 v13, null, s29, v13, vcc_lo
	s_mov_b32 s47, s22
	v_add_co_u32 v12, vcc_lo, v12, s26
	s_wait_alu 0xfffd
	v_add_co_ci_u32_e64 v13, null, s27, v13, vcc_lo
	s_delay_alu instid0(VALU_DEP_2) | instskip(SKIP_1) | instid1(VALU_DEP_2)
	v_add_co_u32 v12, vcc_lo, v12, v6
	s_wait_alu 0xfffd
	v_add_co_ci_u32_e64 v13, null, v13, v7, vcc_lo
.LBB26_13:                              ;   Parent Loop BB26_4 Depth=1
                                        ; =>  This Inner Loop Header: Depth=2
	flat_load_b64 v[15:16], v[12:13]
	v_add_co_u32 v12, vcc_lo, v12, s18
	s_wait_alu 0xfffd
	v_add_co_ci_u32_e64 v13, null, s19, v13, vcc_lo
	s_wait_alu 0xfffe
	s_add_co_i32 s47, s47, -1
	s_wait_alu 0xfffe
	s_cmp_eq_u32 s47, 0
	s_wait_loadcnt_dscnt 0x0
	ds_store_b64 v14, v[15:16]
	v_add_nc_u32_e32 v14, s24, v14
	s_cbranch_scc0 .LBB26_13
.LBB26_14:                              ;   in Loop: Header=BB26_4 Depth=1
	s_wait_alu 0xfffe
	s_or_b32 exec_lo, exec_lo, s25
                                        ; implicit-def: $vgpr12_vgpr13
.LBB26_15:                              ;   in Loop: Header=BB26_4 Depth=1
	s_wait_alu 0xfffe
	s_and_not1_saveexec_b32 s7, s7
	s_cbranch_execz .LBB26_27
; %bb.16:                               ;   in Loop: Header=BB26_4 Depth=1
	s_and_b32 vcc_lo, exec_lo, s43
	s_mov_b32 s25, -1
	s_wait_alu 0xfffe
	s_cbranch_vccz .LBB26_22
; %bb.17:                               ;   in Loop: Header=BB26_4 Depth=1
	s_wait_loadcnt 0x1
	v_add_co_u32 v14, vcc_lo, v12, v27
	s_wait_alu 0xfffd
	v_add_co_ci_u32_e64 v15, null, v13, v28, vcc_lo
	v_mov_b32_e32 v49, v29
	s_mov_b32 s25, s22
	s_branch .LBB26_19
.LBB26_18:                              ;   in Loop: Header=BB26_19 Depth=2
	s_or_b32 exec_lo, exec_lo, s47
	v_add_co_u32 v14, vcc_lo, v14, s30
	s_wait_loadcnt_dscnt 0x0
	ds_store_b64 v49, v[16:17]
	s_wait_alu 0xfffd
	v_add_co_ci_u32_e64 v15, null, s31, v15, vcc_lo
	v_add_nc_u32_e32 v49, s24, v49
	s_cmp_lt_i32 s25, 1
	s_cbranch_scc1 .LBB26_21
.LBB26_19:                              ;   Parent Loop BB26_4 Depth=1
                                        ; =>  This Inner Loop Header: Depth=2
	v_dual_mov_b32 v16, 0 :: v_dual_mov_b32 v17, 0
	s_wait_alu 0xfffe
	s_add_co_i32 s25, s25, -1
	s_mov_b32 s47, exec_lo
	s_wait_alu 0xfffe
	v_cmpx_ge_i32_e64 s25, v2
	s_cbranch_execz .LBB26_18
; %bb.20:                               ;   in Loop: Header=BB26_19 Depth=2
	flat_load_b64 v[16:17], v[14:15] offset:-4
	s_branch .LBB26_18
.LBB26_21:                              ;   in Loop: Header=BB26_4 Depth=1
	s_mov_b32 s25, 0
.LBB26_22:                              ;   in Loop: Header=BB26_4 Depth=1
	s_wait_alu 0xfffe
	s_and_b32 vcc_lo, exec_lo, s25
	s_wait_alu 0xfffe
	s_cbranch_vccz .LBB26_27
; %bb.23:                               ;   in Loop: Header=BB26_4 Depth=1
	s_wait_loadcnt 0x1
	v_add_co_u32 v12, vcc_lo, v12, v31
	s_wait_alu 0xfffd
	v_add_co_ci_u32_e64 v13, null, v13, v30, vcc_lo
	v_mov_b32_e32 v16, v19
	s_mov_b32 s25, 0
	s_branch .LBB26_25
.LBB26_24:                              ;   in Loop: Header=BB26_25 Depth=2
	s_or_b32 exec_lo, exec_lo, s47
	v_add_co_u32 v12, vcc_lo, v12, s18
	s_wait_loadcnt_dscnt 0x0
	ds_store_b64 v16, v[14:15]
	s_wait_alu 0xfffd
	v_add_co_ci_u32_e64 v13, null, s19, v13, vcc_lo
	v_add_nc_u32_e32 v16, s24, v16
	s_add_co_i32 s25, s25, 1
	s_wait_alu 0xfffe
	s_cmp_eq_u32 s22, s25
	s_cbranch_scc1 .LBB26_27
.LBB26_25:                              ;   Parent Loop BB26_4 Depth=1
                                        ; =>  This Inner Loop Header: Depth=2
	v_dual_mov_b32 v14, 0 :: v_dual_mov_b32 v15, 0
	s_mov_b32 s47, exec_lo
	s_wait_alu 0xfffe
	v_cmpx_le_i32_e64 s25, v2
	s_cbranch_execz .LBB26_24
; %bb.26:                               ;   in Loop: Header=BB26_25 Depth=2
	flat_load_b64 v[14:15], v[12:13] offset:-4
	s_branch .LBB26_24
.LBB26_27:                              ;   in Loop: Header=BB26_4 Depth=1
	s_wait_alu 0xfffe
	s_or_b32 exec_lo, exec_lo, s7
	s_wait_loadcnt_dscnt 0x0
	s_barrier_signal -1
	s_barrier_wait -1
	global_inv scope:SCOPE_SE
	s_and_saveexec_b32 s25, s2
	s_cbranch_execz .LBB26_40
; %bb.28:                               ;   in Loop: Header=BB26_4 Depth=1
	s_and_b32 vcc_lo, exec_lo, s44
	s_mov_b32 s7, -1
	s_wait_alu 0xfffe
	s_cbranch_vccz .LBB26_38
; %bb.29:                               ;   in Loop: Header=BB26_4 Depth=1
	ds_load_b64 v[12:13], v24
	s_wait_dscnt 0x0
	v_cmp_neq_f32_e32 vcc_lo, 0, v12
	v_cmp_neq_f32_e64 s7, 0, v13
	s_or_b32 s7, vcc_lo, s7
	s_wait_alu 0xfffe
	s_and_saveexec_b32 s47, s7
	s_wait_alu 0xfffe
	s_xor_b32 s7, exec_lo, s47
	s_cbranch_execz .LBB26_35
; %bb.30:                               ;   in Loop: Header=BB26_4 Depth=1
	v_cmp_ngt_f32_e64 s47, |v12|, |v13|
                                        ; implicit-def: $vgpr14
	s_and_saveexec_b32 s48, s47
	s_wait_alu 0xfffe
	s_xor_b32 s47, exec_lo, s48
	s_cbranch_execz .LBB26_32
; %bb.31:                               ;   in Loop: Header=BB26_4 Depth=1
	v_div_scale_f32 v14, null, v13, v13, v12
	v_div_scale_f32 v17, vcc_lo, v12, v13, v12
	s_delay_alu instid0(VALU_DEP_2) | instskip(NEXT) | instid1(TRANS32_DEP_1)
	v_rcp_f32_e32 v15, v14
	v_fma_f32 v16, -v14, v15, 1.0
	s_delay_alu instid0(VALU_DEP_1) | instskip(NEXT) | instid1(VALU_DEP_1)
	v_fmac_f32_e32 v15, v16, v15
	v_mul_f32_e32 v16, v17, v15
	s_delay_alu instid0(VALU_DEP_1) | instskip(NEXT) | instid1(VALU_DEP_1)
	v_fma_f32 v49, -v14, v16, v17
	v_fmac_f32_e32 v16, v49, v15
	s_delay_alu instid0(VALU_DEP_1) | instskip(SKIP_1) | instid1(VALU_DEP_1)
	v_fma_f32 v14, -v14, v16, v17
	s_wait_alu 0xfffd
	v_div_fmas_f32 v14, v14, v15, v16
	s_delay_alu instid0(VALU_DEP_1) | instskip(NEXT) | instid1(VALU_DEP_1)
	v_div_fixup_f32 v14, v14, v13, v12
	v_fmac_f32_e32 v13, v12, v14
	s_delay_alu instid0(VALU_DEP_1) | instskip(SKIP_1) | instid1(VALU_DEP_2)
	v_div_scale_f32 v12, null, v13, v13, 1.0
	v_div_scale_f32 v17, vcc_lo, 1.0, v13, 1.0
	v_rcp_f32_e32 v15, v12
	s_delay_alu instid0(TRANS32_DEP_1) | instskip(NEXT) | instid1(VALU_DEP_1)
	v_fma_f32 v16, -v12, v15, 1.0
	v_fmac_f32_e32 v15, v16, v15
	s_delay_alu instid0(VALU_DEP_1) | instskip(NEXT) | instid1(VALU_DEP_1)
	v_mul_f32_e32 v16, v17, v15
	v_fma_f32 v49, -v12, v16, v17
	s_delay_alu instid0(VALU_DEP_1) | instskip(NEXT) | instid1(VALU_DEP_1)
	v_fmac_f32_e32 v16, v49, v15
	v_fma_f32 v12, -v12, v16, v17
	s_wait_alu 0xfffd
	s_delay_alu instid0(VALU_DEP_1) | instskip(NEXT) | instid1(VALU_DEP_1)
	v_div_fmas_f32 v12, v12, v15, v16
	v_div_fixup_f32 v12, v12, v13, 1.0
	s_delay_alu instid0(VALU_DEP_1)
	v_mul_f32_e32 v14, v14, v12
	v_xor_b32_e32 v15, 0x80000000, v12
                                        ; implicit-def: $vgpr12_vgpr13
.LBB26_32:                              ;   in Loop: Header=BB26_4 Depth=1
	s_wait_alu 0xfffe
	s_and_not1_saveexec_b32 s47, s47
	s_cbranch_execz .LBB26_34
; %bb.33:                               ;   in Loop: Header=BB26_4 Depth=1
	v_div_scale_f32 v14, null, v12, v12, v13
	v_div_scale_f32 v17, vcc_lo, v13, v12, v13
	s_delay_alu instid0(VALU_DEP_2) | instskip(NEXT) | instid1(TRANS32_DEP_1)
	v_rcp_f32_e32 v15, v14
	v_fma_f32 v16, -v14, v15, 1.0
	s_delay_alu instid0(VALU_DEP_1) | instskip(NEXT) | instid1(VALU_DEP_1)
	v_fmac_f32_e32 v15, v16, v15
	v_mul_f32_e32 v16, v17, v15
	s_delay_alu instid0(VALU_DEP_1) | instskip(NEXT) | instid1(VALU_DEP_1)
	v_fma_f32 v49, -v14, v16, v17
	v_fmac_f32_e32 v16, v49, v15
	s_delay_alu instid0(VALU_DEP_1) | instskip(SKIP_1) | instid1(VALU_DEP_1)
	v_fma_f32 v14, -v14, v16, v17
	s_wait_alu 0xfffd
	v_div_fmas_f32 v14, v14, v15, v16
	s_delay_alu instid0(VALU_DEP_1) | instskip(NEXT) | instid1(VALU_DEP_1)
	v_div_fixup_f32 v15, v14, v12, v13
	v_fmac_f32_e32 v12, v13, v15
	s_delay_alu instid0(VALU_DEP_1) | instskip(NEXT) | instid1(VALU_DEP_1)
	v_div_scale_f32 v13, null, v12, v12, 1.0
	v_rcp_f32_e32 v14, v13
	s_delay_alu instid0(TRANS32_DEP_1) | instskip(NEXT) | instid1(VALU_DEP_1)
	v_fma_f32 v16, -v13, v14, 1.0
	v_fmac_f32_e32 v14, v16, v14
	v_div_scale_f32 v16, vcc_lo, 1.0, v12, 1.0
	s_delay_alu instid0(VALU_DEP_1) | instskip(NEXT) | instid1(VALU_DEP_1)
	v_mul_f32_e32 v17, v16, v14
	v_fma_f32 v49, -v13, v17, v16
	s_delay_alu instid0(VALU_DEP_1) | instskip(NEXT) | instid1(VALU_DEP_1)
	v_fmac_f32_e32 v17, v49, v14
	v_fma_f32 v13, -v13, v17, v16
	s_wait_alu 0xfffd
	s_delay_alu instid0(VALU_DEP_1) | instskip(NEXT) | instid1(VALU_DEP_1)
	v_div_fmas_f32 v13, v13, v14, v17
	v_div_fixup_f32 v14, v13, v12, 1.0
	s_delay_alu instid0(VALU_DEP_1)
	v_mul_f32_e64 v15, v15, -v14
.LBB26_34:                              ;   in Loop: Header=BB26_4 Depth=1
	s_wait_alu 0xfffe
	s_or_b32 exec_lo, exec_lo, s47
	ds_store_b64 v24, v[14:15]
.LBB26_35:                              ;   in Loop: Header=BB26_4 Depth=1
	s_wait_alu 0xfffe
	s_and_not1_saveexec_b32 s7, s7
; %bb.36:                               ;   in Loop: Header=BB26_4 Depth=1
	ds_store_b64 v24, v[0:1]
; %bb.37:                               ;   in Loop: Header=BB26_4 Depth=1
	s_wait_alu 0xfffe
	s_or_b32 exec_lo, exec_lo, s7
	s_mov_b32 s7, 0
.LBB26_38:                              ;   in Loop: Header=BB26_4 Depth=1
	s_wait_alu 0xfffe
	s_and_not1_b32 vcc_lo, exec_lo, s7
	s_wait_alu 0xfffe
	s_cbranch_vccnz .LBB26_40
; %bb.39:                               ;   in Loop: Header=BB26_4 Depth=1
	ds_store_b64 v24, v[0:1]
.LBB26_40:                              ;   in Loop: Header=BB26_4 Depth=1
	s_wait_alu 0xfffe
	s_or_b32 exec_lo, exec_lo, s25
	s_wait_loadcnt_dscnt 0x0
	s_barrier_signal -1
	s_barrier_wait -1
	global_inv scope:SCOPE_SE
	s_and_saveexec_b32 s7, s2
	s_cbranch_execz .LBB26_52
; %bb.41:                               ;   in Loop: Header=BB26_4 Depth=1
	v_dual_mov_b32 v12, v33 :: v_dual_mov_b32 v13, v32
	s_mov_b32 s25, 0
	s_branch .LBB26_43
.LBB26_42:                              ;   in Loop: Header=BB26_43 Depth=2
	v_add_nc_u32_e32 v13, s24, v13
	v_add_nc_u32_e32 v12, s23, v12
	s_cmp_eq_u32 s25, s22
	s_cbranch_scc1 .LBB26_52
.LBB26_43:                              ;   Parent Loop BB26_4 Depth=1
                                        ; =>  This Loop Header: Depth=2
                                        ;       Child Loop BB26_48 Depth 3
	v_dual_mov_b32 v14, 0 :: v_dual_mov_b32 v15, 0
	s_wait_alu 0xfffe
	s_mul_i32 s47, s25, s22
	s_mov_b32 s48, exec_lo
	v_cmpx_lt_i32_e64 s25, v2
	s_cbranch_execz .LBB26_45
; %bb.44:                               ;   in Loop: Header=BB26_43 Depth=2
	s_wait_alu 0xfffe
	s_lshl_b32 s49, s47, 3
	s_lshl_b32 s50, s25, 3
	s_wait_alu 0xfffe
	v_add_nc_u32_e32 v14, s49, v19
	v_add3_u32 v16, s49, s50, v18
	ds_load_b64 v[14:15], v14
	ds_load_b64 v[16:17], v16
	s_wait_dscnt 0x0
	v_mul_f32_e32 v49, v17, v15
	v_mul_f32_e32 v15, v16, v15
	s_delay_alu instid0(VALU_DEP_2) | instskip(NEXT) | instid1(VALU_DEP_1)
	v_fma_f32 v16, v16, v14, -v49
	v_dual_fmac_f32 v15, v17, v14 :: v_dual_add_f32 v14, 0, v16
	s_delay_alu instid0(VALU_DEP_1)
	v_add_f32_e32 v15, 0, v15
.LBB26_45:                              ;   in Loop: Header=BB26_43 Depth=2
	s_wait_alu 0xfffe
	s_or_b32 exec_lo, exec_lo, s48
	s_add_co_i32 s25, s25, 1
	s_wait_alu 0xfffe
	s_cmp_ge_u32 s25, s22
	s_cbranch_scc1 .LBB26_42
; %bb.46:                               ;   in Loop: Header=BB26_43 Depth=2
	v_lshl_add_u32 v16, s47, 3, v19
	v_mov_b32_e32 v17, v12
	v_mov_b32_e32 v49, v13
	s_mov_b32 s47, s25
	s_branch .LBB26_48
.LBB26_47:                              ;   in Loop: Header=BB26_48 Depth=3
	s_wait_alu 0xfffe
	s_or_b32 exec_lo, exec_lo, s48
	v_add_nc_u32_e32 v49, s24, v49
	v_add_nc_u32_e32 v17, 8, v17
	s_add_co_i32 s47, s47, 1
	s_wait_alu 0xfffe
	s_cmp_eq_u32 s22, s47
	s_cbranch_scc1 .LBB26_42
.LBB26_48:                              ;   Parent Loop BB26_4 Depth=1
                                        ;     Parent Loop BB26_43 Depth=2
                                        ; =>    This Inner Loop Header: Depth=3
	s_mov_b32 s48, exec_lo
	s_wait_alu 0xfffe
	v_cmpx_eq_u32_e64 s47, v2
	s_cbranch_execz .LBB26_50
; %bb.49:                               ;   in Loop: Header=BB26_48 Depth=3
	ds_load_b64 v[50:51], v24
	s_wait_dscnt 0x0
	v_dual_sub_f32 v53, 0, v14 :: v_dual_mul_f32 v52, v15, v51
	v_mul_f32_e32 v54, v15, v50
	s_delay_alu instid0(VALU_DEP_2) | instskip(NEXT) | instid1(VALU_DEP_2)
	v_fmac_f32_e32 v52, v53, v50
	v_fma_f32 v53, -v14, v51, -v54
	ds_store_b64 v16, v[52:53]
.LBB26_50:                              ;   in Loop: Header=BB26_48 Depth=3
	s_or_b32 exec_lo, exec_lo, s48
	s_delay_alu instid0(SALU_CYCLE_1)
	s_mov_b32 s48, exec_lo
	v_cmpx_lt_i32_e64 s47, v2
	s_cbranch_execz .LBB26_47
; %bb.51:                               ;   in Loop: Header=BB26_48 Depth=3
	ds_load_b64 v[50:51], v49
	ds_load_b64 v[52:53], v17
	s_wait_dscnt 0x0
	v_mul_f32_e32 v54, v53, v51
	v_mul_f32_e32 v51, v52, v51
	s_delay_alu instid0(VALU_DEP_2) | instskip(NEXT) | instid1(VALU_DEP_1)
	v_fma_f32 v52, v52, v50, -v54
	v_dual_add_f32 v14, v14, v52 :: v_dual_fmac_f32 v51, v53, v50
	s_delay_alu instid0(VALU_DEP_1)
	v_add_f32_e32 v15, v15, v51
	s_branch .LBB26_47
.LBB26_52:                              ;   in Loop: Header=BB26_4 Depth=1
	s_wait_alu 0xfffe
	s_or_b32 exec_lo, exec_lo, s7
	s_delay_alu instid0(SALU_CYCLE_1)
	s_and_b32 vcc_lo, exec_lo, s43
	s_wait_loadcnt_dscnt 0x0
	s_barrier_signal -1
	s_barrier_wait -1
	global_inv scope:SCOPE_SE
	s_wait_alu 0xfffe
	s_cbranch_vccz .LBB26_58
; %bb.53:                               ;   in Loop: Header=BB26_4 Depth=1
	s_mov_b32 s25, 0
	s_mov_b32 s7, 0
                                        ; implicit-def: $vgpr12
	s_and_saveexec_b32 s47, s1
	s_cbranch_execz .LBB26_57
; %bb.54:                               ;   in Loop: Header=BB26_4 Depth=1
	v_dual_mov_b32 v12, 0 :: v_dual_mov_b32 v13, v26
	v_dual_mov_b32 v15, v34 :: v_dual_mov_b32 v14, 0
	s_mov_b32 s48, -1
.LBB26_55:                              ;   Parent Loop BB26_4 Depth=1
                                        ; =>  This Inner Loop Header: Depth=2
	ds_load_b64 v[16:17], v13
	ds_load_b64 v[49:50], v15
	s_wait_alu 0xfffe
	s_add_co_i32 s48, s48, 1
	v_add_nc_u32_e32 v13, 0x80, v13
	s_wait_alu 0xfffe
	v_cmp_ge_u32_e32 vcc_lo, s48, v22
	s_or_b32 s7, vcc_lo, s7
	s_wait_dscnt 0x0
	v_mul_f32_e32 v51, v50, v17
	v_mul_f32_e32 v17, v49, v17
	s_delay_alu instid0(VALU_DEP_2) | instskip(NEXT) | instid1(VALU_DEP_2)
	v_fma_f32 v49, v49, v16, -v51
	v_fmac_f32_e32 v17, v50, v16
	s_delay_alu instid0(VALU_DEP_2) | instskip(NEXT) | instid1(VALU_DEP_2)
	v_dual_add_f32 v14, v14, v49 :: v_dual_add_nc_u32 v15, -8, v15
	v_add_f32_e32 v12, v12, v17
	s_wait_alu 0xfffe
	s_and_not1_b32 exec_lo, exec_lo, s7
	s_cbranch_execnz .LBB26_55
; %bb.56:                               ;   in Loop: Header=BB26_4 Depth=1
	s_or_b32 exec_lo, exec_lo, s7
	s_delay_alu instid0(SALU_CYCLE_1)
	s_mov_b32 s7, exec_lo
	ds_store_b32 v48, v14
.LBB26_57:                              ;   in Loop: Header=BB26_4 Depth=1
	s_wait_alu 0xfffe
	s_or_b32 exec_lo, exec_lo, s47
	s_delay_alu instid0(SALU_CYCLE_1)
	s_and_b32 vcc_lo, exec_lo, s25
	s_wait_alu 0xfffe
	s_cbranch_vccnz .LBB26_59
	s_branch .LBB26_66
.LBB26_58:                              ;   in Loop: Header=BB26_4 Depth=1
	s_mov_b32 s7, 0
                                        ; implicit-def: $vgpr12
	s_cbranch_execz .LBB26_66
.LBB26_59:                              ;   in Loop: Header=BB26_4 Depth=1
                                        ; implicit-def: $vgpr12
	s_and_saveexec_b32 s25, s1
	s_cbranch_execz .LBB26_65
; %bb.60:                               ;   in Loop: Header=BB26_4 Depth=1
	v_dual_mov_b32 v12, 0 :: v_dual_mov_b32 v13, 0
	s_and_saveexec_b32 s47, s6
	s_cbranch_execz .LBB26_64
; %bb.61:                               ;   in Loop: Header=BB26_4 Depth=1
	v_dual_mov_b32 v12, 0 :: v_dual_mov_b32 v15, v36
	v_dual_mov_b32 v14, v37 :: v_dual_mov_b32 v13, 0
	v_mov_b32_e32 v16, v35
	s_mov_b32 s48, 0
.LBB26_62:                              ;   Parent Loop BB26_4 Depth=1
                                        ; =>  This Inner Loop Header: Depth=2
	ds_load_b64 v[49:50], v14
	ds_load_b64 v[51:52], v15
	v_add_nc_u32_e32 v16, 1, v16
	v_add_nc_u32_e32 v15, 8, v15
	s_delay_alu instid0(VALU_DEP_2)
	v_cmp_lt_u32_e32 vcc_lo, 14, v16
	s_wait_alu 0xfffe
	s_or_b32 s48, vcc_lo, s48
	s_wait_dscnt 0x0
	v_mul_f32_e32 v17, v52, v50
	v_mul_f32_e32 v50, v51, v50
	s_delay_alu instid0(VALU_DEP_2) | instskip(NEXT) | instid1(VALU_DEP_2)
	v_fma_f32 v17, v51, v49, -v17
	v_fmac_f32_e32 v50, v52, v49
	s_delay_alu instid0(VALU_DEP_2) | instskip(NEXT) | instid1(VALU_DEP_2)
	v_dual_add_f32 v13, v13, v17 :: v_dual_add_nc_u32 v14, 0x80, v14
	v_add_f32_e32 v12, v12, v50
	s_wait_alu 0xfffe
	s_and_not1_b32 exec_lo, exec_lo, s48
	s_cbranch_execnz .LBB26_62
; %bb.63:                               ;   in Loop: Header=BB26_4 Depth=1
	s_or_b32 exec_lo, exec_lo, s48
.LBB26_64:                              ;   in Loop: Header=BB26_4 Depth=1
	s_wait_alu 0xfffe
	s_or_b32 exec_lo, exec_lo, s47
	s_delay_alu instid0(SALU_CYCLE_1)
	s_or_b32 s7, s7, exec_lo
	ds_store_b32 v48, v13
.LBB26_65:                              ;   in Loop: Header=BB26_4 Depth=1
	s_wait_alu 0xfffe
	s_or_b32 exec_lo, exec_lo, s25
.LBB26_66:                              ;   in Loop: Header=BB26_4 Depth=1
	s_wait_alu 0xfffe
	s_and_saveexec_b32 s25, s7
; %bb.67:                               ;   in Loop: Header=BB26_4 Depth=1
	ds_store_b32 v48, v12 offset:4
; %bb.68:                               ;   in Loop: Header=BB26_4 Depth=1
	s_wait_alu 0xfffe
	s_or_b32 exec_lo, exec_lo, s25
	v_add_co_u32 v12, vcc_lo, v10, s16
	s_wait_alu 0xfffd
	v_add_co_ci_u32_e64 v13, null, s17, v11, vcc_lo
	s_wait_loadcnt_dscnt 0x0
	s_delay_alu instid0(VALU_DEP_2) | instskip(SKIP_1) | instid1(VALU_DEP_2)
	v_add_co_u32 v12, vcc_lo, v12, s36
	s_wait_alu 0xfffd
	v_add_co_ci_u32_e64 v13, null, s37, v13, vcc_lo
	s_barrier_signal -1
	s_delay_alu instid0(VALU_DEP_2) | instskip(SKIP_1) | instid1(VALU_DEP_2)
	v_add_co_u32 v14, vcc_lo, v12, s34
	s_wait_alu 0xfffd
	v_add_co_ci_u32_e64 v15, null, s35, v13, vcc_lo
	s_and_b32 vcc_lo, exec_lo, s43
	s_barrier_wait -1
	global_inv scope:SCOPE_SE
	s_wait_alu 0xfffe
	s_cbranch_vccz .LBB26_74
; %bb.69:                               ;   in Loop: Header=BB26_4 Depth=1
	s_mov_b32 s25, 0
	s_mov_b32 s7, 0
                                        ; implicit-def: $vgpr16
                                        ; implicit-def: $vgpr12_vgpr13
	s_and_saveexec_b32 s47, s1
	s_cbranch_execz .LBB26_73
; %bb.70:                               ;   in Loop: Header=BB26_4 Depth=1
	v_dual_mov_b32 v17, 0 :: v_dual_mov_b32 v12, v40
	v_dual_mov_b32 v13, v39 :: v_dual_mov_b32 v16, 0
	v_mov_b32_e32 v49, v38
.LBB26_71:                              ;   Parent Loop BB26_4 Depth=1
                                        ; =>  This Inner Loop Header: Depth=2
	ds_load_b64 v[50:51], v12
	ds_load_b64 v[52:53], v13
	v_add_nc_u32_e32 v49, 1, v49
	s_delay_alu instid0(VALU_DEP_1)
	v_cmp_lt_u32_e32 vcc_lo, 14, v49
	s_wait_alu 0xfffe
	s_or_b32 s7, vcc_lo, s7
	s_wait_dscnt 0x0
	v_mul_f32_e32 v54, v50, v52
	v_mul_f32_e32 v50, v50, v53
	s_delay_alu instid0(VALU_DEP_2) | instskip(NEXT) | instid1(VALU_DEP_2)
	v_fma_f32 v53, v51, v53, -v54
	v_fma_f32 v50, v52, -v51, -v50
	v_add_nc_u32_e32 v13, 8, v13
	s_delay_alu instid0(VALU_DEP_3) | instskip(NEXT) | instid1(VALU_DEP_3)
	v_dual_add_f32 v17, v17, v53 :: v_dual_add_nc_u32 v12, s46, v12
	v_add_f32_e32 v16, v16, v50
	s_wait_alu 0xfffe
	s_and_not1_b32 exec_lo, exec_lo, s7
	s_cbranch_execnz .LBB26_71
; %bb.72:                               ;   in Loop: Header=BB26_4 Depth=1
	s_or_b32 exec_lo, exec_lo, s7
	s_lshl_b64 s[48:49], s[12:13], 3
	s_mov_b32 s7, exec_lo
	s_wait_alu 0xfffe
	v_add_co_u32 v12, vcc_lo, v14, s48
	s_wait_alu 0xfffd
	v_add_co_ci_u32_e64 v13, null, s49, v15, vcc_lo
	s_delay_alu instid0(VALU_DEP_2) | instskip(SKIP_1) | instid1(VALU_DEP_2)
	v_add_co_u32 v12, vcc_lo, v12, v46
	s_wait_alu 0xfffd
	v_add_co_ci_u32_e64 v13, null, 0, v13, vcc_lo
	s_delay_alu instid0(VALU_DEP_2) | instskip(SKIP_1) | instid1(VALU_DEP_2)
	v_add_co_u32 v12, vcc_lo, v12, v8
	s_wait_alu 0xfffd
	v_add_co_ci_u32_e64 v13, null, v13, v9, vcc_lo
	flat_store_b32 v[12:13], v17
.LBB26_73:                              ;   in Loop: Header=BB26_4 Depth=1
	s_wait_alu 0xfffe
	s_or_b32 exec_lo, exec_lo, s47
	s_delay_alu instid0(SALU_CYCLE_1)
	s_and_b32 vcc_lo, exec_lo, s25
	s_wait_alu 0xfffe
	s_cbranch_vccnz .LBB26_75
	s_branch .LBB26_80
.LBB26_74:                              ;   in Loop: Header=BB26_4 Depth=1
	s_mov_b32 s7, 0
                                        ; implicit-def: $vgpr16
                                        ; implicit-def: $vgpr12_vgpr13
	s_cbranch_execz .LBB26_80
.LBB26_75:                              ;   in Loop: Header=BB26_4 Depth=1
                                        ; implicit-def: $vgpr16
                                        ; implicit-def: $vgpr12_vgpr13
	s_and_saveexec_b32 s25, s1
	s_cbranch_execz .LBB26_79
; %bb.76:                               ;   in Loop: Header=BB26_4 Depth=1
	v_dual_mov_b32 v17, 0 :: v_dual_mov_b32 v12, v42
	v_dual_mov_b32 v13, v41 :: v_dual_mov_b32 v16, 0
	s_mov_b32 s48, -1
	s_mov_b32 s47, 0
.LBB26_77:                              ;   Parent Loop BB26_4 Depth=1
                                        ; =>  This Inner Loop Header: Depth=2
	ds_load_b64 v[49:50], v12
	ds_load_b64 v[51:52], v13
	s_wait_alu 0xfffe
	s_add_co_i32 s48, s48, 1
	v_add_nc_u32_e32 v13, 8, v13
	s_wait_alu 0xfffe
	v_cmp_ge_u32_e32 vcc_lo, s48, v23
	v_add_nc_u32_e32 v12, s24, v12
	s_or_b32 s47, vcc_lo, s47
	s_wait_dscnt 0x0
	v_mul_f32_e32 v53, v49, v51
	v_mul_f32_e32 v49, v49, v52
	s_delay_alu instid0(VALU_DEP_2) | instskip(NEXT) | instid1(VALU_DEP_2)
	v_fma_f32 v52, v50, v52, -v53
	v_fma_f32 v49, v51, -v50, -v49
	s_delay_alu instid0(VALU_DEP_1)
	v_dual_add_f32 v17, v17, v52 :: v_dual_add_f32 v16, v16, v49
	s_wait_alu 0xfffe
	s_and_not1_b32 exec_lo, exec_lo, s47
	s_cbranch_execnz .LBB26_77
; %bb.78:                               ;   in Loop: Header=BB26_4 Depth=1
	s_or_b32 exec_lo, exec_lo, s47
	v_add_co_u32 v12, vcc_lo, v14, v8
	s_wait_alu 0xfffd
	v_add_co_ci_u32_e64 v13, null, v15, v9, vcc_lo
	s_or_b32 s7, s7, exec_lo
	v_add_co_u32 v12, vcc_lo, v12, v47
	s_wait_alu 0xfffd
	v_add_co_ci_u32_e64 v13, null, 0, v13, vcc_lo
	flat_store_b32 v[12:13], v17
.LBB26_79:                              ;   in Loop: Header=BB26_4 Depth=1
	s_wait_alu 0xfffe
	s_or_b32 exec_lo, exec_lo, s25
.LBB26_80:                              ;   in Loop: Header=BB26_4 Depth=1
	s_wait_alu 0xfffe
	s_and_saveexec_b32 s25, s7
	s_cbranch_execz .LBB26_82
; %bb.81:                               ;   in Loop: Header=BB26_4 Depth=1
	flat_store_b32 v[12:13], v16 offset:4
.LBB26_82:                              ;   in Loop: Header=BB26_4 Depth=1
	s_wait_alu 0xfffe
	s_or_b32 exec_lo, exec_lo, s25
	s_and_saveexec_b32 s25, s2
	s_cbranch_execz .LBB26_2
; %bb.83:                               ;   in Loop: Header=BB26_4 Depth=1
	s_and_b32 vcc_lo, exec_lo, s43
	s_mov_b32 s7, -1
	s_wait_alu 0xfffe
	s_cbranch_vccz .LBB26_88
; %bb.84:                               ;   in Loop: Header=BB26_4 Depth=1
	s_and_saveexec_b32 s47, s4
	s_cbranch_execz .LBB26_87
; %bb.85:                               ;   in Loop: Header=BB26_4 Depth=1
	v_add_co_u32 v10, vcc_lo, v10, v43
	s_wait_alu 0xfffd
	v_add_co_ci_u32_e64 v11, null, v11, v44, vcc_lo
	v_mov_b32_e32 v12, v29
	s_mov_b32 s48, 0
	s_mov_b32 s49, s22
.LBB26_86:                              ;   Parent Loop BB26_4 Depth=1
                                        ; =>  This Inner Loop Header: Depth=2
	ds_load_b64 v[16:17], v12
	s_wait_alu 0xfffe
	s_add_co_i32 s49, s49, -1
	v_add_nc_u32_e32 v12, s24, v12
	s_wait_alu 0xfffe
	v_cmp_le_i32_e32 vcc_lo, s49, v2
	s_or_b32 s48, vcc_lo, s48
	s_wait_dscnt 0x0
	flat_store_b64 v[10:11], v[16:17]
	v_add_co_u32 v10, s7, v10, s40
	s_wait_alu 0xf1ff
	v_add_co_ci_u32_e64 v11, null, s41, v11, s7
	s_wait_alu 0xfffe
	s_and_not1_b32 exec_lo, exec_lo, s48
	s_cbranch_execnz .LBB26_86
.LBB26_87:                              ;   in Loop: Header=BB26_4 Depth=1
	s_wait_alu 0xfffe
	s_or_b32 exec_lo, exec_lo, s47
	s_mov_b32 s7, 0
.LBB26_88:                              ;   in Loop: Header=BB26_4 Depth=1
	s_wait_alu 0xfffe
	s_and_not1_b32 vcc_lo, exec_lo, s7
	s_wait_alu 0xfffe
	s_cbranch_vccnz .LBB26_2
; %bb.89:                               ;   in Loop: Header=BB26_4 Depth=1
	s_and_b32 exec_lo, exec_lo, s5
	s_cbranch_execz .LBB26_2
; %bb.90:                               ;   in Loop: Header=BB26_4 Depth=1
	v_lshlrev_b64_e32 v[10:11], 3, v[2:3]
	v_add_co_u32 v12, vcc_lo, v14, v4
	s_wait_alu 0xfffd
	v_add_co_ci_u32_e64 v13, null, v15, v5, vcc_lo
	s_mov_b32 s47, 0
	v_add_co_u32 v10, vcc_lo, v12, v10
	s_wait_alu 0xfffd
	v_add_co_ci_u32_e64 v11, null, v13, v11, vcc_lo
	v_dual_mov_b32 v12, v19 :: v_dual_mov_b32 v13, v45
.LBB26_91:                              ;   Parent Loop BB26_4 Depth=1
                                        ; =>  This Inner Loop Header: Depth=2
	ds_load_b64 v[14:15], v12
	v_add_nc_u32_e32 v13, -1, v13
	v_add_nc_u32_e32 v12, s24, v12
	s_delay_alu instid0(VALU_DEP_2)
	v_cmp_eq_u32_e32 vcc_lo, 0, v13
	s_wait_alu 0xfffe
	s_or_b32 s47, vcc_lo, s47
	s_wait_dscnt 0x0
	flat_store_b64 v[10:11], v[14:15]
	v_add_co_u32 v10, s7, v10, s38
	s_wait_alu 0xf1ff
	v_add_co_ci_u32_e64 v11, null, s39, v11, s7
	s_wait_alu 0xfffe
	s_and_not1_b32 exec_lo, exec_lo, s47
	s_cbranch_execnz .LBB26_91
	s_branch .LBB26_2
.LBB26_92:
	s_endpgm
	.section	.rodata,"a",@progbits
	.p2align	6, 0x0
	.amdhsa_kernel _ZL29rocblas_trtri_diagonal_kernelILi16E19rocblas_complex_numIfEPKPKS1_PKPS1_Ev13rocblas_fill_17rocblas_diagonal_iT1_lillT2_lilli
		.amdhsa_group_segment_fixed_size 8192
		.amdhsa_private_segment_fixed_size 0
		.amdhsa_kernarg_size 100
		.amdhsa_user_sgpr_count 2
		.amdhsa_user_sgpr_dispatch_ptr 0
		.amdhsa_user_sgpr_queue_ptr 0
		.amdhsa_user_sgpr_kernarg_segment_ptr 1
		.amdhsa_user_sgpr_dispatch_id 0
		.amdhsa_user_sgpr_private_segment_size 0
		.amdhsa_wavefront_size32 1
		.amdhsa_uses_dynamic_stack 0
		.amdhsa_enable_private_segment 0
		.amdhsa_system_sgpr_workgroup_id_x 1
		.amdhsa_system_sgpr_workgroup_id_y 0
		.amdhsa_system_sgpr_workgroup_id_z 1
		.amdhsa_system_sgpr_workgroup_info 0
		.amdhsa_system_vgpr_workitem_id 0
		.amdhsa_next_free_vgpr 55
		.amdhsa_next_free_sgpr 52
		.amdhsa_reserve_vcc 1
		.amdhsa_float_round_mode_32 0
		.amdhsa_float_round_mode_16_64 0
		.amdhsa_float_denorm_mode_32 3
		.amdhsa_float_denorm_mode_16_64 3
		.amdhsa_fp16_overflow 0
		.amdhsa_workgroup_processor_mode 1
		.amdhsa_memory_ordered 1
		.amdhsa_forward_progress 1
		.amdhsa_inst_pref_size 35
		.amdhsa_round_robin_scheduling 0
		.amdhsa_exception_fp_ieee_invalid_op 0
		.amdhsa_exception_fp_denorm_src 0
		.amdhsa_exception_fp_ieee_div_zero 0
		.amdhsa_exception_fp_ieee_overflow 0
		.amdhsa_exception_fp_ieee_underflow 0
		.amdhsa_exception_fp_ieee_inexact 0
		.amdhsa_exception_int_div_zero 0
	.end_amdhsa_kernel
	.section	.text._ZL29rocblas_trtri_diagonal_kernelILi16E19rocblas_complex_numIfEPKPKS1_PKPS1_Ev13rocblas_fill_17rocblas_diagonal_iT1_lillT2_lilli,"axG",@progbits,_ZL29rocblas_trtri_diagonal_kernelILi16E19rocblas_complex_numIfEPKPKS1_PKPS1_Ev13rocblas_fill_17rocblas_diagonal_iT1_lillT2_lilli,comdat
.Lfunc_end26:
	.size	_ZL29rocblas_trtri_diagonal_kernelILi16E19rocblas_complex_numIfEPKPKS1_PKPS1_Ev13rocblas_fill_17rocblas_diagonal_iT1_lillT2_lilli, .Lfunc_end26-_ZL29rocblas_trtri_diagonal_kernelILi16E19rocblas_complex_numIfEPKPKS1_PKPS1_Ev13rocblas_fill_17rocblas_diagonal_iT1_lillT2_lilli
                                        ; -- End function
	.set _ZL29rocblas_trtri_diagonal_kernelILi16E19rocblas_complex_numIfEPKPKS1_PKPS1_Ev13rocblas_fill_17rocblas_diagonal_iT1_lillT2_lilli.num_vgpr, 55
	.set _ZL29rocblas_trtri_diagonal_kernelILi16E19rocblas_complex_numIfEPKPKS1_PKPS1_Ev13rocblas_fill_17rocblas_diagonal_iT1_lillT2_lilli.num_agpr, 0
	.set _ZL29rocblas_trtri_diagonal_kernelILi16E19rocblas_complex_numIfEPKPKS1_PKPS1_Ev13rocblas_fill_17rocblas_diagonal_iT1_lillT2_lilli.numbered_sgpr, 52
	.set _ZL29rocblas_trtri_diagonal_kernelILi16E19rocblas_complex_numIfEPKPKS1_PKPS1_Ev13rocblas_fill_17rocblas_diagonal_iT1_lillT2_lilli.num_named_barrier, 0
	.set _ZL29rocblas_trtri_diagonal_kernelILi16E19rocblas_complex_numIfEPKPKS1_PKPS1_Ev13rocblas_fill_17rocblas_diagonal_iT1_lillT2_lilli.private_seg_size, 0
	.set _ZL29rocblas_trtri_diagonal_kernelILi16E19rocblas_complex_numIfEPKPKS1_PKPS1_Ev13rocblas_fill_17rocblas_diagonal_iT1_lillT2_lilli.uses_vcc, 1
	.set _ZL29rocblas_trtri_diagonal_kernelILi16E19rocblas_complex_numIfEPKPKS1_PKPS1_Ev13rocblas_fill_17rocblas_diagonal_iT1_lillT2_lilli.uses_flat_scratch, 0
	.set _ZL29rocblas_trtri_diagonal_kernelILi16E19rocblas_complex_numIfEPKPKS1_PKPS1_Ev13rocblas_fill_17rocblas_diagonal_iT1_lillT2_lilli.has_dyn_sized_stack, 0
	.set _ZL29rocblas_trtri_diagonal_kernelILi16E19rocblas_complex_numIfEPKPKS1_PKPS1_Ev13rocblas_fill_17rocblas_diagonal_iT1_lillT2_lilli.has_recursion, 0
	.set _ZL29rocblas_trtri_diagonal_kernelILi16E19rocblas_complex_numIfEPKPKS1_PKPS1_Ev13rocblas_fill_17rocblas_diagonal_iT1_lillT2_lilli.has_indirect_call, 0
	.section	.AMDGPU.csdata,"",@progbits
; Kernel info:
; codeLenInByte = 4444
; TotalNumSgprs: 54
; NumVgprs: 55
; ScratchSize: 0
; MemoryBound: 0
; FloatMode: 240
; IeeeMode: 1
; LDSByteSize: 8192 bytes/workgroup (compile time only)
; SGPRBlocks: 0
; VGPRBlocks: 6
; NumSGPRsForWavesPerEU: 54
; NumVGPRsForWavesPerEU: 55
; Occupancy: 16
; WaveLimiterHint : 1
; COMPUTE_PGM_RSRC2:SCRATCH_EN: 0
; COMPUTE_PGM_RSRC2:USER_SGPR: 2
; COMPUTE_PGM_RSRC2:TRAP_HANDLER: 0
; COMPUTE_PGM_RSRC2:TGID_X_EN: 1
; COMPUTE_PGM_RSRC2:TGID_Y_EN: 0
; COMPUTE_PGM_RSRC2:TGID_Z_EN: 1
; COMPUTE_PGM_RSRC2:TIDIG_COMP_CNT: 0
	.section	.text._ZL30rocblas_trtri_remainder_kernelILi16E19rocblas_complex_numIfEPKPKS1_PKPS1_Ev13rocblas_fill_17rocblas_diagonal_iT1_lillT2_lilli,"axG",@progbits,_ZL30rocblas_trtri_remainder_kernelILi16E19rocblas_complex_numIfEPKPKS1_PKPS1_Ev13rocblas_fill_17rocblas_diagonal_iT1_lillT2_lilli,comdat
	.globl	_ZL30rocblas_trtri_remainder_kernelILi16E19rocblas_complex_numIfEPKPKS1_PKPS1_Ev13rocblas_fill_17rocblas_diagonal_iT1_lillT2_lilli ; -- Begin function _ZL30rocblas_trtri_remainder_kernelILi16E19rocblas_complex_numIfEPKPKS1_PKPS1_Ev13rocblas_fill_17rocblas_diagonal_iT1_lillT2_lilli
	.p2align	8
	.type	_ZL30rocblas_trtri_remainder_kernelILi16E19rocblas_complex_numIfEPKPKS1_PKPS1_Ev13rocblas_fill_17rocblas_diagonal_iT1_lillT2_lilli,@function
_ZL30rocblas_trtri_remainder_kernelILi16E19rocblas_complex_numIfEPKPKS1_PKPS1_Ev13rocblas_fill_17rocblas_diagonal_iT1_lillT2_lilli: ; @_ZL30rocblas_trtri_remainder_kernelILi16E19rocblas_complex_numIfEPKPKS1_PKPS1_Ev13rocblas_fill_17rocblas_diagonal_iT1_lillT2_lilli
; %bb.0:
	s_load_b32 s15, s[0:1], 0x60
	s_lshr_b32 s2, ttmp7, 16
	s_wait_kmcnt 0x0
	s_cmp_ge_u32 s2, s15
	s_cbranch_scc1 .LBB27_45
; %bb.1:
	s_clause 0x5
	s_load_b32 s22, s[0:1], 0x20
	s_load_b96 s[16:18], s[0:1], 0x40
	s_load_b128 s[4:7], s[0:1], 0x30
	s_load_b64 s[24:25], s[0:1], 0x58
	s_load_b96 s[12:14], s[0:1], 0x0
	s_load_b128 s[8:11], s[0:1], 0x10
	s_mov_b32 s3, 0
	s_mov_b32 s20, ttmp9
	s_mov_b32 s21, s3
	s_mov_b32 s27, s3
	v_dual_mov_b32 v2, 0 :: v_dual_lshlrev_b32 v9, 3, v0
	v_add_nc_u32_e32 v14, 1, v0
	v_lshlrev_b32_e32 v18, 3, v0
	s_wait_kmcnt 0x0
	s_ashr_i32 s23, s22, 31
	s_ashr_i32 s35, s18, 31
	s_mul_u64 s[4:5], s[4:5], s[20:21]
	s_mov_b32 s34, s18
	s_cmp_gt_i32 s14, 0
	s_mul_u64 s[20:21], s[24:25], s[20:21]
	s_cselect_b32 s28, -1, 0
	s_cmp_lg_u32 s12, 0x7a
	v_mul_lo_u32 v1, v0, s14
	s_cselect_b32 s29, -1, 0
	s_add_co_i32 s26, s14, -1
	s_cmp_lg_u32 s13, 0x84
	s_mul_u64 s[12:13], s[22:23], s[26:27]
	s_cselect_b32 s30, -1, 0
	s_lshl_b64 s[4:5], s[4:5], 3
	s_lshl_b64 s[12:13], s[12:13], 3
	;; [unrolled: 1-line block ×3, first 2 shown]
	s_add_nc_u64 s[12:13], s[4:5], s[12:13]
	s_lshl_b64 s[20:21], s[20:21], 3
	s_add_nc_u64 s[18:19], s[12:13], s[10:11]
	s_lshl_b64 s[12:13], s[22:23], 3
	s_mul_u64 s[22:23], s[34:35], s[26:27]
	s_lshl_b64 s[16:17], s[16:17], 3
	s_lshl_b64 s[22:23], s[22:23], 3
	v_sub_nc_u32_e32 v3, s26, v0
	s_add_nc_u64 s[22:23], s[20:21], s[22:23]
	v_add_co_u32 v12, s1, s18, v9
	s_add_nc_u64 s[22:23], s[22:23], s[16:17]
	s_lshl_b32 s31, s14, 3
	v_add_co_ci_u32_e64 v13, null, s19, 0, s1
	v_add_co_u32 v16, s1, s22, v9
	v_cmp_gt_u32_e64 s0, s14, v0
	v_add_lshl_u32 v10, v1, v0, 3
	v_lshlrev_b32_e32 v11, 3, v3
	v_add_nc_u32_e32 v15, s31, v9
	s_wait_alu 0xf1ff
	v_add_co_ci_u32_e64 v17, null, s23, 0, s1
	v_mov_b32_e32 v1, 1.0
	s_lshl_b64 s[22:23], s[34:35], 3
	s_sub_nc_u64 s[18:19], 0, s[12:13]
	s_add_co_i32 s33, s31, 8
	s_wait_alu 0xfffe
	s_sub_nc_u64 s[24:25], 0, s[22:23]
	s_branch .LBB27_4
.LBB27_2:                               ;   in Loop: Header=BB27_4 Depth=1
	s_wait_alu 0xfffe
	s_or_b32 exec_lo, exec_lo, s26
.LBB27_3:                               ;   in Loop: Header=BB27_4 Depth=1
	s_add_co_i32 s2, s2, 0x10000
	s_delay_alu instid0(SALU_CYCLE_1)
	s_cmp_lt_u32 s2, s15
	s_cbranch_scc0 .LBB27_45
.LBB27_4:                               ; =>This Loop Header: Depth=1
                                        ;     Child Loop BB27_8 Depth 2
                                        ;     Child Loop BB27_12 Depth 2
	;; [unrolled: 1-line block ×3, first 2 shown]
                                        ;       Child Loop BB27_33 Depth 3
                                        ;     Child Loop BB27_40 Depth 2
                                        ;     Child Loop BB27_44 Depth 2
	s_and_not1_b32 vcc_lo, exec_lo, s28
	s_wait_alu 0xfffe
	s_cbranch_vccnz .LBB27_3
; %bb.5:                                ;   in Loop: Header=BB27_4 Depth=1
	s_lshl_b64 s[26:27], s[2:3], 3
	s_wait_alu 0xfffe
	s_add_nc_u64 s[34:35], s[6:7], s[26:27]
	global_load_b64 v[3:4], v2, s[34:35]
	s_and_saveexec_b32 s34, s0
	s_cbranch_execz .LBB27_13
; %bb.6:                                ;   in Loop: Header=BB27_4 Depth=1
	s_add_nc_u64 s[26:27], s[8:9], s[26:27]
	s_and_not1_b32 vcc_lo, exec_lo, s29
	global_load_b64 v[5:6], v2, s[26:27]
	s_mov_b32 s1, -1
	s_wait_alu 0xfffe
	s_cbranch_vccnz .LBB27_10
; %bb.7:                                ;   in Loop: Header=BB27_4 Depth=1
	s_wait_loadcnt 0x0
	v_add_co_u32 v7, vcc_lo, v5, v12
	s_wait_alu 0xfffd
	v_add_co_ci_u32_e64 v8, null, v6, v13, vcc_lo
	v_mov_b32_e32 v19, v11
	s_mov_b32 s26, 0
	s_mov_b32 s27, s14
.LBB27_8:                               ;   Parent Loop BB27_4 Depth=1
                                        ; =>  This Inner Loop Header: Depth=2
	flat_load_b64 v[20:21], v[7:8]
	s_wait_alu 0xfffe
	s_add_co_i32 s27, s27, -1
	v_add_co_u32 v7, vcc_lo, v7, s18
	s_wait_alu 0xfffe
	v_cmp_le_u32_e64 s1, s27, v0
	s_wait_alu 0xfffd
	v_add_co_ci_u32_e64 v8, null, s19, v8, vcc_lo
	s_or_b32 s26, s1, s26
	s_wait_loadcnt_dscnt 0x0
	ds_store_b64 v19, v[20:21]
	v_add_nc_u32_e32 v19, s31, v19
	s_wait_alu 0xfffe
	s_and_not1_b32 exec_lo, exec_lo, s26
	s_cbranch_execnz .LBB27_8
; %bb.9:                                ;   in Loop: Header=BB27_4 Depth=1
	s_or_b32 exec_lo, exec_lo, s26
	s_mov_b32 s1, 0
.LBB27_10:                              ;   in Loop: Header=BB27_4 Depth=1
	s_wait_alu 0xfffe
	s_and_b32 vcc_lo, exec_lo, s1
	s_wait_alu 0xfffe
	s_cbranch_vccz .LBB27_13
; %bb.11:                               ;   in Loop: Header=BB27_4 Depth=1
	s_wait_loadcnt 0x0
	v_add_co_u32 v5, vcc_lo, v5, s10
	s_wait_alu 0xfffd
	v_add_co_ci_u32_e64 v6, null, s11, v6, vcc_lo
	v_dual_mov_b32 v7, v9 :: v_dual_mov_b32 v8, v14
	s_delay_alu instid0(VALU_DEP_3) | instskip(SKIP_1) | instid1(VALU_DEP_3)
	v_add_co_u32 v5, vcc_lo, v5, s4
	s_wait_alu 0xfffd
	v_add_co_ci_u32_e64 v6, null, s5, v6, vcc_lo
	s_mov_b32 s26, 0
	v_add_co_u32 v5, vcc_lo, v5, v18
	s_wait_alu 0xfffd
	v_add_co_ci_u32_e64 v6, null, 0, v6, vcc_lo
.LBB27_12:                              ;   Parent Loop BB27_4 Depth=1
                                        ; =>  This Inner Loop Header: Depth=2
	flat_load_b64 v[19:20], v[5:6]
	v_add_nc_u32_e32 v8, -1, v8
	v_add_co_u32 v5, vcc_lo, v5, s12
	s_wait_alu 0xfffd
	v_add_co_ci_u32_e64 v6, null, s13, v6, vcc_lo
	s_delay_alu instid0(VALU_DEP_3)
	v_cmp_eq_u32_e64 s1, 0, v8
	s_wait_alu 0xfffe
	s_or_b32 s26, s1, s26
	s_wait_loadcnt_dscnt 0x0
	ds_store_b64 v7, v[19:20]
	v_add_nc_u32_e32 v7, s31, v7
	s_wait_alu 0xfffe
	s_and_not1_b32 exec_lo, exec_lo, s26
	s_cbranch_execnz .LBB27_12
.LBB27_13:                              ;   in Loop: Header=BB27_4 Depth=1
	s_wait_alu 0xfffe
	s_or_b32 exec_lo, exec_lo, s34
	s_wait_loadcnt_dscnt 0x0
	s_barrier_signal -1
	s_barrier_wait -1
	global_inv scope:SCOPE_SE
	s_and_saveexec_b32 s26, s0
	s_cbranch_execz .LBB27_26
; %bb.14:                               ;   in Loop: Header=BB27_4 Depth=1
	s_and_b32 vcc_lo, exec_lo, s30
	s_mov_b32 s1, -1
	s_wait_alu 0xfffe
	s_cbranch_vccz .LBB27_24
; %bb.15:                               ;   in Loop: Header=BB27_4 Depth=1
	ds_load_b64 v[5:6], v10
	s_wait_dscnt 0x0
	v_cmp_neq_f32_e32 vcc_lo, 0, v5
	v_cmp_neq_f32_e64 s1, 0, v6
	s_or_b32 s1, vcc_lo, s1
	s_wait_alu 0xfffe
	s_and_saveexec_b32 s27, s1
	s_wait_alu 0xfffe
	s_xor_b32 s1, exec_lo, s27
	s_cbranch_execz .LBB27_21
; %bb.16:                               ;   in Loop: Header=BB27_4 Depth=1
	v_cmp_ngt_f32_e64 s27, |v5|, |v6|
                                        ; implicit-def: $vgpr7
	s_and_saveexec_b32 s34, s27
	s_wait_alu 0xfffe
	s_xor_b32 s27, exec_lo, s34
	s_cbranch_execz .LBB27_18
; %bb.17:                               ;   in Loop: Header=BB27_4 Depth=1
	v_div_scale_f32 v7, null, v6, v6, v5
	v_div_scale_f32 v20, vcc_lo, v5, v6, v5
	s_delay_alu instid0(VALU_DEP_2) | instskip(NEXT) | instid1(TRANS32_DEP_1)
	v_rcp_f32_e32 v8, v7
	v_fma_f32 v19, -v7, v8, 1.0
	s_delay_alu instid0(VALU_DEP_1) | instskip(NEXT) | instid1(VALU_DEP_1)
	v_fmac_f32_e32 v8, v19, v8
	v_mul_f32_e32 v19, v20, v8
	s_delay_alu instid0(VALU_DEP_1) | instskip(NEXT) | instid1(VALU_DEP_1)
	v_fma_f32 v21, -v7, v19, v20
	v_fmac_f32_e32 v19, v21, v8
	s_delay_alu instid0(VALU_DEP_1) | instskip(SKIP_1) | instid1(VALU_DEP_1)
	v_fma_f32 v7, -v7, v19, v20
	s_wait_alu 0xfffd
	v_div_fmas_f32 v7, v7, v8, v19
	s_delay_alu instid0(VALU_DEP_1) | instskip(NEXT) | instid1(VALU_DEP_1)
	v_div_fixup_f32 v7, v7, v6, v5
	v_fmac_f32_e32 v6, v5, v7
	s_delay_alu instid0(VALU_DEP_1) | instskip(SKIP_1) | instid1(VALU_DEP_2)
	v_div_scale_f32 v5, null, v6, v6, 1.0
	v_div_scale_f32 v20, vcc_lo, 1.0, v6, 1.0
	v_rcp_f32_e32 v8, v5
	s_delay_alu instid0(TRANS32_DEP_1) | instskip(NEXT) | instid1(VALU_DEP_1)
	v_fma_f32 v19, -v5, v8, 1.0
	v_fmac_f32_e32 v8, v19, v8
	s_delay_alu instid0(VALU_DEP_1) | instskip(NEXT) | instid1(VALU_DEP_1)
	v_mul_f32_e32 v19, v20, v8
	v_fma_f32 v21, -v5, v19, v20
	s_delay_alu instid0(VALU_DEP_1) | instskip(NEXT) | instid1(VALU_DEP_1)
	v_fmac_f32_e32 v19, v21, v8
	v_fma_f32 v5, -v5, v19, v20
	s_wait_alu 0xfffd
	s_delay_alu instid0(VALU_DEP_1) | instskip(NEXT) | instid1(VALU_DEP_1)
	v_div_fmas_f32 v5, v5, v8, v19
	v_div_fixup_f32 v5, v5, v6, 1.0
	s_delay_alu instid0(VALU_DEP_1)
	v_mul_f32_e32 v7, v7, v5
	v_xor_b32_e32 v8, 0x80000000, v5
                                        ; implicit-def: $vgpr5_vgpr6
.LBB27_18:                              ;   in Loop: Header=BB27_4 Depth=1
	s_wait_alu 0xfffe
	s_and_not1_saveexec_b32 s27, s27
	s_cbranch_execz .LBB27_20
; %bb.19:                               ;   in Loop: Header=BB27_4 Depth=1
	v_div_scale_f32 v7, null, v5, v5, v6
	v_div_scale_f32 v20, vcc_lo, v6, v5, v6
	s_delay_alu instid0(VALU_DEP_2) | instskip(NEXT) | instid1(TRANS32_DEP_1)
	v_rcp_f32_e32 v8, v7
	v_fma_f32 v19, -v7, v8, 1.0
	s_delay_alu instid0(VALU_DEP_1) | instskip(NEXT) | instid1(VALU_DEP_1)
	v_fmac_f32_e32 v8, v19, v8
	v_mul_f32_e32 v19, v20, v8
	s_delay_alu instid0(VALU_DEP_1) | instskip(NEXT) | instid1(VALU_DEP_1)
	v_fma_f32 v21, -v7, v19, v20
	v_fmac_f32_e32 v19, v21, v8
	s_delay_alu instid0(VALU_DEP_1) | instskip(SKIP_1) | instid1(VALU_DEP_1)
	v_fma_f32 v7, -v7, v19, v20
	s_wait_alu 0xfffd
	v_div_fmas_f32 v7, v7, v8, v19
	s_delay_alu instid0(VALU_DEP_1) | instskip(NEXT) | instid1(VALU_DEP_1)
	v_div_fixup_f32 v8, v7, v5, v6
	v_fmac_f32_e32 v5, v6, v8
	s_delay_alu instid0(VALU_DEP_1) | instskip(NEXT) | instid1(VALU_DEP_1)
	v_div_scale_f32 v6, null, v5, v5, 1.0
	v_rcp_f32_e32 v7, v6
	s_delay_alu instid0(TRANS32_DEP_1) | instskip(NEXT) | instid1(VALU_DEP_1)
	v_fma_f32 v19, -v6, v7, 1.0
	v_fmac_f32_e32 v7, v19, v7
	v_div_scale_f32 v19, vcc_lo, 1.0, v5, 1.0
	s_delay_alu instid0(VALU_DEP_1) | instskip(NEXT) | instid1(VALU_DEP_1)
	v_mul_f32_e32 v20, v19, v7
	v_fma_f32 v21, -v6, v20, v19
	s_delay_alu instid0(VALU_DEP_1) | instskip(NEXT) | instid1(VALU_DEP_1)
	v_fmac_f32_e32 v20, v21, v7
	v_fma_f32 v6, -v6, v20, v19
	s_wait_alu 0xfffd
	s_delay_alu instid0(VALU_DEP_1) | instskip(NEXT) | instid1(VALU_DEP_1)
	v_div_fmas_f32 v6, v6, v7, v20
	v_div_fixup_f32 v7, v6, v5, 1.0
	s_delay_alu instid0(VALU_DEP_1)
	v_mul_f32_e64 v8, v8, -v7
.LBB27_20:                              ;   in Loop: Header=BB27_4 Depth=1
	s_wait_alu 0xfffe
	s_or_b32 exec_lo, exec_lo, s27
	ds_store_b64 v10, v[7:8]
.LBB27_21:                              ;   in Loop: Header=BB27_4 Depth=1
	s_wait_alu 0xfffe
	s_and_not1_saveexec_b32 s1, s1
; %bb.22:                               ;   in Loop: Header=BB27_4 Depth=1
	ds_store_b64 v10, v[1:2]
; %bb.23:                               ;   in Loop: Header=BB27_4 Depth=1
	s_wait_alu 0xfffe
	s_or_b32 exec_lo, exec_lo, s1
	s_mov_b32 s1, 0
.LBB27_24:                              ;   in Loop: Header=BB27_4 Depth=1
	s_wait_alu 0xfffe
	s_and_not1_b32 vcc_lo, exec_lo, s1
	s_wait_alu 0xfffe
	s_cbranch_vccnz .LBB27_26
; %bb.25:                               ;   in Loop: Header=BB27_4 Depth=1
	ds_store_b64 v10, v[1:2]
.LBB27_26:                              ;   in Loop: Header=BB27_4 Depth=1
	s_wait_alu 0xfffe
	s_or_b32 exec_lo, exec_lo, s26
	v_mov_b32_e32 v5, v15
	s_mov_b32 s1, 0
	s_mov_b32 s26, 8
	s_wait_loadcnt_dscnt 0x0
	s_barrier_signal -1
	s_barrier_wait -1
	global_inv scope:SCOPE_SE
	s_branch .LBB27_28
.LBB27_27:                              ;   in Loop: Header=BB27_28 Depth=2
	v_add_nc_u32_e32 v5, s31, v5
	s_add_co_i32 s26, s26, s33
	s_cmp_eq_u32 s1, s14
	s_wait_loadcnt 0x0
	s_barrier_signal -1
	s_barrier_wait -1
	global_inv scope:SCOPE_SE
	s_cbranch_scc1 .LBB27_37
.LBB27_28:                              ;   Parent Loop BB27_4 Depth=1
                                        ; =>  This Loop Header: Depth=2
                                        ;       Child Loop BB27_33 Depth 3
	v_dual_mov_b32 v6, 0 :: v_dual_mov_b32 v7, 0
	s_wait_alu 0xfffe
	s_mul_i32 s27, s1, s14
	s_mov_b32 s34, exec_lo
	v_cmpx_lt_u32_e64 s1, v0
	s_cbranch_execz .LBB27_30
; %bb.29:                               ;   in Loop: Header=BB27_28 Depth=2
	s_wait_alu 0xfffe
	s_lshl_b32 s35, s27, 3
	s_lshl_b32 s36, s1, 3
	s_wait_alu 0xfffe
	v_add_nc_u32_e32 v6, s35, v9
	s_add_co_i32 s36, s36, s35
	s_wait_alu 0xfffe
	v_mov_b32_e32 v8, s36
	ds_load_b64 v[6:7], v6
	ds_load_b64 v[19:20], v8
	s_wait_dscnt 0x0
	v_mul_f32_e32 v8, v20, v7
	v_mul_f32_e32 v7, v19, v7
	s_delay_alu instid0(VALU_DEP_2) | instskip(NEXT) | instid1(VALU_DEP_1)
	v_fma_f32 v8, v19, v6, -v8
	v_dual_fmac_f32 v7, v20, v6 :: v_dual_add_f32 v6, 0, v8
	s_delay_alu instid0(VALU_DEP_1)
	v_add_f32_e32 v7, 0, v7
.LBB27_30:                              ;   in Loop: Header=BB27_28 Depth=2
	s_wait_alu 0xfffe
	s_or_b32 exec_lo, exec_lo, s34
	s_add_co_i32 s1, s1, 1
	s_wait_loadcnt 0x0
	s_wait_alu 0xfffe
	s_cmp_ge_i32 s1, s14
	s_barrier_signal -1
	s_barrier_wait -1
	global_inv scope:SCOPE_SE
	s_cbranch_scc1 .LBB27_27
; %bb.31:                               ;   in Loop: Header=BB27_28 Depth=2
	v_lshl_add_u32 v8, s27, 3, v9
	v_mov_b32_e32 v19, v5
	s_mov_b32 s27, s26
	s_mov_b32 s34, s1
	s_branch .LBB27_33
.LBB27_32:                              ;   in Loop: Header=BB27_33 Depth=3
	s_wait_alu 0xfffe
	s_or_b32 exec_lo, exec_lo, s35
	v_add_nc_u32_e32 v19, s31, v19
	s_add_co_i32 s34, s34, 1
	s_add_co_i32 s27, s27, 8
	s_wait_alu 0xfffe
	s_cmp_eq_u32 s14, s34
	s_wait_loadcnt 0x0
	s_barrier_signal -1
	s_barrier_wait -1
	global_inv scope:SCOPE_SE
	s_cbranch_scc1 .LBB27_27
.LBB27_33:                              ;   Parent Loop BB27_4 Depth=1
                                        ;     Parent Loop BB27_28 Depth=2
                                        ; =>    This Inner Loop Header: Depth=3
	s_mov_b32 s35, exec_lo
	s_wait_alu 0xfffe
	v_cmpx_eq_u32_e64 s34, v0
	s_cbranch_execz .LBB27_35
; %bb.34:                               ;   in Loop: Header=BB27_33 Depth=3
	ds_load_b64 v[20:21], v10
	s_wait_dscnt 0x0
	v_dual_sub_f32 v23, 0, v6 :: v_dual_mul_f32 v22, v7, v21
	v_mul_f32_e32 v24, v7, v20
	s_delay_alu instid0(VALU_DEP_2) | instskip(NEXT) | instid1(VALU_DEP_2)
	v_fmac_f32_e32 v22, v23, v20
	v_fma_f32 v23, -v6, v21, -v24
	ds_store_b64 v8, v[22:23]
.LBB27_35:                              ;   in Loop: Header=BB27_33 Depth=3
	s_or_b32 exec_lo, exec_lo, s35
	s_delay_alu instid0(SALU_CYCLE_1)
	s_mov_b32 s35, exec_lo
	s_wait_loadcnt_dscnt 0x0
	s_barrier_signal -1
	s_barrier_wait -1
	global_inv scope:SCOPE_SE
	v_cmpx_lt_u32_e64 s34, v0
	s_cbranch_execz .LBB27_32
; %bb.36:                               ;   in Loop: Header=BB27_33 Depth=3
	v_mov_b32_e32 v22, s27
	ds_load_b64 v[20:21], v19
	ds_load_b64 v[22:23], v22
	s_wait_dscnt 0x0
	v_mul_f32_e32 v24, v23, v21
	v_mul_f32_e32 v21, v22, v21
	s_delay_alu instid0(VALU_DEP_2) | instskip(NEXT) | instid1(VALU_DEP_1)
	v_fma_f32 v22, v22, v20, -v24
	v_dual_fmac_f32 v21, v23, v20 :: v_dual_add_f32 v6, v6, v22
	s_delay_alu instid0(VALU_DEP_1)
	v_add_f32_e32 v7, v7, v21
	s_branch .LBB27_32
.LBB27_37:                              ;   in Loop: Header=BB27_4 Depth=1
	s_and_saveexec_b32 s26, s0
	s_cbranch_execz .LBB27_2
; %bb.38:                               ;   in Loop: Header=BB27_4 Depth=1
	s_and_not1_b32 vcc_lo, exec_lo, s29
	s_mov_b32 s1, -1
	s_wait_alu 0xfffe
	s_cbranch_vccnz .LBB27_42
; %bb.39:                               ;   in Loop: Header=BB27_4 Depth=1
	v_add_co_u32 v5, vcc_lo, v3, v16
	s_wait_alu 0xfffd
	v_add_co_ci_u32_e64 v6, null, v4, v17, vcc_lo
	v_mov_b32_e32 v7, v11
	s_mov_b32 s27, 0
	s_mov_b32 s34, s14
.LBB27_40:                              ;   Parent Loop BB27_4 Depth=1
                                        ; =>  This Inner Loop Header: Depth=2
	ds_load_b64 v[19:20], v7
	s_wait_alu 0xfffe
	s_add_co_i32 s34, s34, -1
	v_add_nc_u32_e32 v7, s31, v7
	s_wait_alu 0xfffe
	v_cmp_le_u32_e32 vcc_lo, s34, v0
	s_or_b32 s27, vcc_lo, s27
	s_wait_dscnt 0x0
	flat_store_b64 v[5:6], v[19:20]
	v_add_co_u32 v5, s1, v5, s24
	s_wait_alu 0xf1ff
	v_add_co_ci_u32_e64 v6, null, s25, v6, s1
	s_wait_alu 0xfffe
	s_and_not1_b32 exec_lo, exec_lo, s27
	s_cbranch_execnz .LBB27_40
; %bb.41:                               ;   in Loop: Header=BB27_4 Depth=1
	s_or_b32 exec_lo, exec_lo, s27
	s_mov_b32 s1, 0
.LBB27_42:                              ;   in Loop: Header=BB27_4 Depth=1
	s_wait_alu 0xfffe
	s_and_b32 vcc_lo, exec_lo, s1
	s_wait_alu 0xfffe
	s_cbranch_vccz .LBB27_2
; %bb.43:                               ;   in Loop: Header=BB27_4 Depth=1
	v_add_co_u32 v3, vcc_lo, v3, s16
	s_wait_alu 0xfffd
	v_add_co_ci_u32_e64 v4, null, s17, v4, vcc_lo
	v_dual_mov_b32 v5, v9 :: v_dual_mov_b32 v6, v14
	s_delay_alu instid0(VALU_DEP_3) | instskip(SKIP_1) | instid1(VALU_DEP_3)
	v_add_co_u32 v3, vcc_lo, v3, s20
	s_wait_alu 0xfffd
	v_add_co_ci_u32_e64 v4, null, s21, v4, vcc_lo
	s_mov_b32 s27, 0
	v_add_co_u32 v3, vcc_lo, v3, v18
	s_wait_alu 0xfffd
	v_add_co_ci_u32_e64 v4, null, 0, v4, vcc_lo
.LBB27_44:                              ;   Parent Loop BB27_4 Depth=1
                                        ; =>  This Inner Loop Header: Depth=2
	ds_load_b64 v[7:8], v5
	v_add_nc_u32_e32 v6, -1, v6
	v_add_nc_u32_e32 v5, s31, v5
	s_delay_alu instid0(VALU_DEP_2)
	v_cmp_eq_u32_e32 vcc_lo, 0, v6
	s_wait_alu 0xfffe
	s_or_b32 s27, vcc_lo, s27
	s_wait_dscnt 0x0
	flat_store_b64 v[3:4], v[7:8]
	v_add_co_u32 v3, s1, v3, s22
	s_wait_alu 0xf1ff
	v_add_co_ci_u32_e64 v4, null, s23, v4, s1
	s_wait_alu 0xfffe
	s_and_not1_b32 exec_lo, exec_lo, s27
	s_cbranch_execnz .LBB27_44
	s_branch .LBB27_2
.LBB27_45:
	s_endpgm
	.section	.rodata,"a",@progbits
	.p2align	6, 0x0
	.amdhsa_kernel _ZL30rocblas_trtri_remainder_kernelILi16E19rocblas_complex_numIfEPKPKS1_PKPS1_Ev13rocblas_fill_17rocblas_diagonal_iT1_lillT2_lilli
		.amdhsa_group_segment_fixed_size 8192
		.amdhsa_private_segment_fixed_size 0
		.amdhsa_kernarg_size 100
		.amdhsa_user_sgpr_count 2
		.amdhsa_user_sgpr_dispatch_ptr 0
		.amdhsa_user_sgpr_queue_ptr 0
		.amdhsa_user_sgpr_kernarg_segment_ptr 1
		.amdhsa_user_sgpr_dispatch_id 0
		.amdhsa_user_sgpr_private_segment_size 0
		.amdhsa_wavefront_size32 1
		.amdhsa_uses_dynamic_stack 0
		.amdhsa_enable_private_segment 0
		.amdhsa_system_sgpr_workgroup_id_x 1
		.amdhsa_system_sgpr_workgroup_id_y 0
		.amdhsa_system_sgpr_workgroup_id_z 1
		.amdhsa_system_sgpr_workgroup_info 0
		.amdhsa_system_vgpr_workitem_id 0
		.amdhsa_next_free_vgpr 25
		.amdhsa_next_free_sgpr 37
		.amdhsa_reserve_vcc 1
		.amdhsa_float_round_mode_32 0
		.amdhsa_float_round_mode_16_64 0
		.amdhsa_float_denorm_mode_32 3
		.amdhsa_float_denorm_mode_16_64 3
		.amdhsa_fp16_overflow 0
		.amdhsa_workgroup_processor_mode 1
		.amdhsa_memory_ordered 1
		.amdhsa_forward_progress 1
		.amdhsa_inst_pref_size 18
		.amdhsa_round_robin_scheduling 0
		.amdhsa_exception_fp_ieee_invalid_op 0
		.amdhsa_exception_fp_denorm_src 0
		.amdhsa_exception_fp_ieee_div_zero 0
		.amdhsa_exception_fp_ieee_overflow 0
		.amdhsa_exception_fp_ieee_underflow 0
		.amdhsa_exception_fp_ieee_inexact 0
		.amdhsa_exception_int_div_zero 0
	.end_amdhsa_kernel
	.section	.text._ZL30rocblas_trtri_remainder_kernelILi16E19rocblas_complex_numIfEPKPKS1_PKPS1_Ev13rocblas_fill_17rocblas_diagonal_iT1_lillT2_lilli,"axG",@progbits,_ZL30rocblas_trtri_remainder_kernelILi16E19rocblas_complex_numIfEPKPKS1_PKPS1_Ev13rocblas_fill_17rocblas_diagonal_iT1_lillT2_lilli,comdat
.Lfunc_end27:
	.size	_ZL30rocblas_trtri_remainder_kernelILi16E19rocblas_complex_numIfEPKPKS1_PKPS1_Ev13rocblas_fill_17rocblas_diagonal_iT1_lillT2_lilli, .Lfunc_end27-_ZL30rocblas_trtri_remainder_kernelILi16E19rocblas_complex_numIfEPKPKS1_PKPS1_Ev13rocblas_fill_17rocblas_diagonal_iT1_lillT2_lilli
                                        ; -- End function
	.set _ZL30rocblas_trtri_remainder_kernelILi16E19rocblas_complex_numIfEPKPKS1_PKPS1_Ev13rocblas_fill_17rocblas_diagonal_iT1_lillT2_lilli.num_vgpr, 25
	.set _ZL30rocblas_trtri_remainder_kernelILi16E19rocblas_complex_numIfEPKPKS1_PKPS1_Ev13rocblas_fill_17rocblas_diagonal_iT1_lillT2_lilli.num_agpr, 0
	.set _ZL30rocblas_trtri_remainder_kernelILi16E19rocblas_complex_numIfEPKPKS1_PKPS1_Ev13rocblas_fill_17rocblas_diagonal_iT1_lillT2_lilli.numbered_sgpr, 37
	.set _ZL30rocblas_trtri_remainder_kernelILi16E19rocblas_complex_numIfEPKPKS1_PKPS1_Ev13rocblas_fill_17rocblas_diagonal_iT1_lillT2_lilli.num_named_barrier, 0
	.set _ZL30rocblas_trtri_remainder_kernelILi16E19rocblas_complex_numIfEPKPKS1_PKPS1_Ev13rocblas_fill_17rocblas_diagonal_iT1_lillT2_lilli.private_seg_size, 0
	.set _ZL30rocblas_trtri_remainder_kernelILi16E19rocblas_complex_numIfEPKPKS1_PKPS1_Ev13rocblas_fill_17rocblas_diagonal_iT1_lillT2_lilli.uses_vcc, 1
	.set _ZL30rocblas_trtri_remainder_kernelILi16E19rocblas_complex_numIfEPKPKS1_PKPS1_Ev13rocblas_fill_17rocblas_diagonal_iT1_lillT2_lilli.uses_flat_scratch, 0
	.set _ZL30rocblas_trtri_remainder_kernelILi16E19rocblas_complex_numIfEPKPKS1_PKPS1_Ev13rocblas_fill_17rocblas_diagonal_iT1_lillT2_lilli.has_dyn_sized_stack, 0
	.set _ZL30rocblas_trtri_remainder_kernelILi16E19rocblas_complex_numIfEPKPKS1_PKPS1_Ev13rocblas_fill_17rocblas_diagonal_iT1_lillT2_lilli.has_recursion, 0
	.set _ZL30rocblas_trtri_remainder_kernelILi16E19rocblas_complex_numIfEPKPKS1_PKPS1_Ev13rocblas_fill_17rocblas_diagonal_iT1_lillT2_lilli.has_indirect_call, 0
	.section	.AMDGPU.csdata,"",@progbits
; Kernel info:
; codeLenInByte = 2204
; TotalNumSgprs: 39
; NumVgprs: 25
; ScratchSize: 0
; MemoryBound: 0
; FloatMode: 240
; IeeeMode: 1
; LDSByteSize: 8192 bytes/workgroup (compile time only)
; SGPRBlocks: 0
; VGPRBlocks: 3
; NumSGPRsForWavesPerEU: 39
; NumVGPRsForWavesPerEU: 25
; Occupancy: 16
; WaveLimiterHint : 0
; COMPUTE_PGM_RSRC2:SCRATCH_EN: 0
; COMPUTE_PGM_RSRC2:USER_SGPR: 2
; COMPUTE_PGM_RSRC2:TRAP_HANDLER: 0
; COMPUTE_PGM_RSRC2:TGID_X_EN: 1
; COMPUTE_PGM_RSRC2:TGID_Y_EN: 0
; COMPUTE_PGM_RSRC2:TGID_Z_EN: 1
; COMPUTE_PGM_RSRC2:TIDIG_COMP_CNT: 0
	.section	.text._ZL18rocblas_trtri_fillILi128E19rocblas_complex_numIdEPKPS1_EvP15_rocblas_handle13rocblas_fill_ililT1_llii,"axG",@progbits,_ZL18rocblas_trtri_fillILi128E19rocblas_complex_numIdEPKPS1_EvP15_rocblas_handle13rocblas_fill_ililT1_llii,comdat
	.globl	_ZL18rocblas_trtri_fillILi128E19rocblas_complex_numIdEPKPS1_EvP15_rocblas_handle13rocblas_fill_ililT1_llii ; -- Begin function _ZL18rocblas_trtri_fillILi128E19rocblas_complex_numIdEPKPS1_EvP15_rocblas_handle13rocblas_fill_ililT1_llii
	.p2align	8
	.type	_ZL18rocblas_trtri_fillILi128E19rocblas_complex_numIdEPKPS1_EvP15_rocblas_handle13rocblas_fill_ililT1_llii,@function
_ZL18rocblas_trtri_fillILi128E19rocblas_complex_numIdEPKPS1_EvP15_rocblas_handle13rocblas_fill_ililT1_llii: ; @_ZL18rocblas_trtri_fillILi128E19rocblas_complex_numIdEPKPS1_EvP15_rocblas_handle13rocblas_fill_ililT1_llii
; %bb.0:
	s_load_b64 s[2:3], s[0:1], 0x40
	s_lshr_b32 s12, ttmp7, 16
	s_wait_kmcnt 0x0
	s_cmp_ge_u32 s12, s3
	s_cbranch_scc1 .LBB28_19
; %bb.1:
	s_clause 0x1
	s_load_b128 s[4:7], s[0:1], 0x8
	s_load_b32 s16, s[0:1], 0x18
	s_mov_b32 s14, ttmp9
	s_ashr_i32 s21, s2, 31
	s_mov_b32 s20, s2
	s_clause 0x1
	s_load_b128 s[8:11], s[0:1], 0x20
	s_load_b64 s[30:31], s[0:1], 0x30
	s_add_nc_u64 s[26:27], s[0:1], 0x48
	s_wait_kmcnt 0x0
	v_cvt_f32_u32_e32 v1, s6
	s_add_co_i32 s13, s5, -2
	s_cvt_f32_u32 s15, s7
	s_ashr_i32 s19, s5, 31
	s_add_co_i32 s24, s5, -1
	v_rcp_iflag_f32_e32 v3, v1
	v_cvt_f64_i32_e32 v[1:2], s13
	s_cvt_f32_u32 s13, s6
	s_mov_b32 s18, s5
	s_sub_co_i32 s5, 0, s6
	s_ashr_i32 s25, s24, 31
	s_wait_alu 0xfffe
	s_fmamk_f32 s2, s15, 0x4f800000, s13
	s_mov_b32 s15, 0
	s_mul_u64 s[20:21], s[6:7], s[20:21]
	s_lshl_b64 s[22:23], s[14:15], 7
	s_delay_alu instid0(SALU_CYCLE_1) | instskip(SKIP_3) | instid1(VALU_DEP_1)
	v_dual_mul_f32 v3, 0x4f7ffffe, v3 :: v_dual_mov_b32 v4, s23
	v_s_rcp_f32 s2, s2
	s_mul_u64 s[24:25], s[24:25], s[18:19]
	s_ashr_i32 s17, s16, 31
	v_cvt_u32_f32_e32 v6, v3
	v_or_b32_e32 v3, s22, v0
	s_lshl_b64 s[22:23], s[24:25], 2
	s_lshr_b64 s[24:25], s[24:25], 1
	s_mul_f32 s13, s2, 0x5f7ffffc
	v_mul_lo_u32 v5, s5, v6
	s_wait_alu 0xfffe
	s_add_nc_u64 s[22:23], s[22:23], -7
	s_lshl_b64 s[30:31], s[30:31], 4
	s_mul_f32 s2, s13, 0x2f800000
	s_sub_nc_u64 s[34:35], 0, s[6:7]
	s_wait_alu 0xfffe
	s_delay_alu instid0(SALU_CYCLE_1)
	s_trunc_f32 s5, s2
	v_mul_hi_u32 v0, v6, v5
	v_cmp_gt_u64_e64 s2, s[20:21], v[3:4]
	v_mov_b32_e32 v5, 0
	s_wait_alu 0xfffe
	s_fmamk_f32 s13, s5, 0xcf800000, s13
	s_cvt_u32_f32 s29, s5
	s_wait_alu 0xfffe
	s_delay_alu instid0(SALU_CYCLE_1)
	s_cvt_u32_f32 s28, s13
	v_add_nc_u32_e32 v0, v6, v0
	s_branch .LBB28_3
.LBB28_2:                               ;   in Loop: Header=BB28_3 Depth=1
	s_wait_alu 0xfffe
	s_or_b32 exec_lo, exec_lo, s1
	s_add_co_i32 s12, s12, 0x10000
	s_wait_alu 0xfffe
	s_cmp_lt_u32 s12, s3
	s_cbranch_scc0 .LBB28_19
.LBB28_3:                               ; =>This Loop Header: Depth=1
                                        ;     Child Loop BB28_6 Depth 2
	s_and_saveexec_b32 s1, s2
	s_cbranch_execz .LBB28_2
; %bb.4:                                ;   in Loop: Header=BB28_3 Depth=1
	s_mov_b32 s13, s15
	s_clause 0x1
	s_load_b32 s0, s[26:27], 0xc
	s_load_b32 s14, s[26:27], 0x0
	s_lshl_b64 s[36:37], s[12:13], 3
	v_dual_mov_b32 v8, v4 :: v_dual_mov_b32 v7, v3
	s_wait_alu 0xfffe
	s_add_nc_u64 s[36:37], s[10:11], s[36:37]
	s_mov_b32 s5, 0
	s_load_b64 s[38:39], s[36:37], 0x0
	s_mov_b32 s37, s15
	s_wait_kmcnt 0x0
	s_and_b32 s36, s0, 0xffff
	s_wait_alu 0xfffe
	s_mul_u64 s[36:37], s[36:37], s[14:15]
	s_add_nc_u64 s[38:39], s[38:39], s[30:31]
	s_branch .LBB28_6
.LBB28_5:                               ;   in Loop: Header=BB28_6 Depth=2
	v_add_co_u32 v7, vcc_lo, v7, s36
	s_wait_alu 0xfffd
	v_add_co_ci_u32_e64 v8, null, s37, v8, vcc_lo
	s_delay_alu instid0(VALU_DEP_1)
	v_cmp_le_u64_e32 vcc_lo, s[20:21], v[7:8]
	s_or_b32 s5, vcc_lo, s5
	s_wait_alu 0xfffe
	s_and_not1_b32 exec_lo, exec_lo, s5
	s_cbranch_execz .LBB28_2
.LBB28_6:                               ;   Parent Loop BB28_3 Depth=1
                                        ; =>  This Inner Loop Header: Depth=2
	v_or_b32_e32 v6, s7, v8
                                        ; implicit-def: $vgpr9_vgpr10
	s_mov_b32 s0, exec_lo
	s_delay_alu instid0(VALU_DEP_1)
	v_cmpx_ne_u64_e32 0, v[5:6]
	s_wait_alu 0xfffe
	s_xor_b32 s13, exec_lo, s0
	s_cbranch_execz .LBB28_8
; %bb.7:                                ;   in Loop: Header=BB28_6 Depth=2
	s_mul_u64 s[40:41], s[34:35], s[28:29]
	s_delay_alu instid0(SALU_CYCLE_1)
	s_mul_hi_u32 s43, s28, s41
	s_mul_i32 s42, s28, s41
	s_mul_hi_u32 s14, s28, s40
	s_mul_hi_u32 s0, s29, s40
	s_wait_alu 0xfffe
	s_add_nc_u64 s[42:43], s[14:15], s[42:43]
	s_mul_i32 s14, s29, s40
	s_mul_hi_u32 s33, s29, s41
	s_wait_alu 0xfffe
	s_add_co_u32 s14, s42, s14
	s_add_co_ci_u32 s14, s43, s0
	s_add_co_ci_u32 s43, s33, 0
	s_mul_i32 s42, s29, s41
	s_wait_alu 0xfffe
	s_add_nc_u64 s[40:41], s[14:15], s[42:43]
	s_delay_alu instid0(SALU_CYCLE_1) | instskip(SKIP_4) | instid1(SALU_CYCLE_1)
	s_add_co_u32 s40, s28, s40
	s_cselect_b32 s0, -1, 0
	s_wait_alu 0xfffe
	s_cmp_lg_u32 s0, 0
	s_add_co_ci_u32 s41, s29, s41
	s_mul_u64 s[42:43], s[34:35], s[40:41]
	s_delay_alu instid0(SALU_CYCLE_1)
	s_mul_hi_u32 s45, s40, s43
	s_mul_i32 s44, s40, s43
	s_mul_hi_u32 s14, s40, s42
	s_mul_i32 s33, s41, s42
	s_wait_alu 0xfffe
	s_add_nc_u64 s[44:45], s[14:15], s[44:45]
	s_mul_hi_u32 s0, s41, s42
	s_mul_hi_u32 s46, s41, s43
	s_add_co_u32 s14, s44, s33
	s_wait_alu 0xfffe
	s_add_co_ci_u32 s14, s45, s0
	s_mul_i32 s42, s41, s43
	s_add_co_ci_u32 s43, s46, 0
	s_wait_alu 0xfffe
	s_add_nc_u64 s[42:43], s[14:15], s[42:43]
	s_delay_alu instid0(SALU_CYCLE_1)
	s_add_co_u32 s0, s40, s42
	s_cselect_b32 s14, -1, 0
	s_wait_alu 0xfffe
	v_mul_hi_u32 v6, v7, s0
	s_cmp_lg_u32 s14, 0
	v_mad_co_u64_u32 v[11:12], null, v8, s0, 0
	s_add_co_ci_u32 s14, s41, s43
	s_wait_alu 0xfffe
	v_mad_co_u64_u32 v[9:10], null, v7, s14, 0
	v_mad_co_u64_u32 v[13:14], null, v8, s14, 0
	s_delay_alu instid0(VALU_DEP_2) | instskip(SKIP_1) | instid1(VALU_DEP_3)
	v_add_co_u32 v6, vcc_lo, v6, v9
	s_wait_alu 0xfffd
	v_add_co_ci_u32_e64 v9, null, 0, v10, vcc_lo
	s_delay_alu instid0(VALU_DEP_2) | instskip(SKIP_1) | instid1(VALU_DEP_2)
	v_add_co_u32 v6, vcc_lo, v6, v11
	s_wait_alu 0xfffd
	v_add_co_ci_u32_e32 v6, vcc_lo, v9, v12, vcc_lo
	s_wait_alu 0xfffd
	v_add_co_ci_u32_e32 v9, vcc_lo, 0, v14, vcc_lo
	s_delay_alu instid0(VALU_DEP_2) | instskip(SKIP_1) | instid1(VALU_DEP_2)
	v_add_co_u32 v6, vcc_lo, v6, v13
	s_wait_alu 0xfffd
	v_add_co_ci_u32_e64 v11, null, 0, v9, vcc_lo
	s_delay_alu instid0(VALU_DEP_2) | instskip(SKIP_1) | instid1(VALU_DEP_3)
	v_mul_lo_u32 v12, s7, v6
	v_mad_co_u64_u32 v[9:10], null, s6, v6, 0
	v_mul_lo_u32 v13, s6, v11
	s_delay_alu instid0(VALU_DEP_2) | instskip(NEXT) | instid1(VALU_DEP_2)
	v_sub_co_u32 v9, vcc_lo, v7, v9
	v_add3_u32 v10, v10, v13, v12
	v_add_co_u32 v13, s0, v6, 2
	s_wait_alu 0xf1ff
	v_add_co_ci_u32_e64 v14, null, 0, v11, s0
	s_delay_alu instid0(VALU_DEP_3) | instskip(SKIP_3) | instid1(VALU_DEP_3)
	v_sub_nc_u32_e32 v12, v8, v10
	v_sub_co_u32 v15, s0, v9, s6
	s_wait_alu 0xfffd
	v_sub_co_ci_u32_e64 v10, null, v8, v10, vcc_lo
	v_subrev_co_ci_u32_e64 v12, null, s7, v12, vcc_lo
	s_delay_alu instid0(VALU_DEP_3) | instskip(SKIP_1) | instid1(VALU_DEP_2)
	v_cmp_le_u32_e32 vcc_lo, s6, v15
	s_wait_alu 0xf1ff
	v_subrev_co_ci_u32_e64 v12, null, 0, v12, s0
	s_wait_alu 0xfffd
	v_cndmask_b32_e64 v15, 0, -1, vcc_lo
	v_cmp_eq_u32_e64 s0, s7, v10
	s_delay_alu instid0(VALU_DEP_3)
	v_cmp_le_u32_e32 vcc_lo, s7, v12
	s_wait_alu 0xfffd
	v_cndmask_b32_e64 v16, 0, -1, vcc_lo
	v_cmp_le_u32_e32 vcc_lo, s6, v9
	s_wait_alu 0xfffd
	v_cndmask_b32_e64 v9, 0, -1, vcc_lo
	;; [unrolled: 3-line block ×3, first 2 shown]
	v_cmp_eq_u32_e32 vcc_lo, s7, v12
	s_wait_alu 0xf1ff
	s_delay_alu instid0(VALU_DEP_2)
	v_cndmask_b32_e64 v9, v17, v9, s0
	s_wait_alu 0xfffd
	v_cndmask_b32_e32 v12, v16, v15, vcc_lo
	v_add_co_u32 v15, vcc_lo, v6, 1
	s_wait_alu 0xfffd
	v_add_co_ci_u32_e64 v16, null, 0, v11, vcc_lo
	s_delay_alu instid0(VALU_DEP_3) | instskip(SKIP_2) | instid1(VALU_DEP_3)
	v_cmp_ne_u32_e32 vcc_lo, 0, v12
	s_wait_alu 0xfffd
	v_cndmask_b32_e32 v12, v15, v13, vcc_lo
	v_cndmask_b32_e32 v10, v16, v14, vcc_lo
	v_cmp_ne_u32_e32 vcc_lo, 0, v9
	s_wait_alu 0xfffd
	s_delay_alu instid0(VALU_DEP_2)
	v_dual_cndmask_b32 v9, v6, v12 :: v_dual_cndmask_b32 v10, v11, v10
.LBB28_8:                               ;   in Loop: Header=BB28_6 Depth=2
	s_wait_alu 0xfffe
	s_and_not1_saveexec_b32 s0, s13
	s_cbranch_execz .LBB28_10
; %bb.9:                                ;   in Loop: Header=BB28_6 Depth=2
	v_mul_hi_u32 v6, v7, v0
	s_delay_alu instid0(VALU_DEP_1) | instskip(NEXT) | instid1(VALU_DEP_1)
	v_mul_lo_u32 v9, v6, s6
	v_sub_nc_u32_e32 v9, v7, v9
	s_delay_alu instid0(VALU_DEP_1) | instskip(SKIP_2) | instid1(VALU_DEP_2)
	v_subrev_nc_u32_e32 v11, s6, v9
	v_cmp_le_u32_e32 vcc_lo, s6, v9
	s_wait_alu 0xfffd
	v_dual_cndmask_b32 v9, v9, v11 :: v_dual_add_nc_u32 v10, 1, v6
	s_delay_alu instid0(VALU_DEP_1) | instskip(NEXT) | instid1(VALU_DEP_2)
	v_cndmask_b32_e32 v6, v6, v10, vcc_lo
	v_cmp_le_u32_e32 vcc_lo, s6, v9
	s_delay_alu instid0(VALU_DEP_2) | instskip(SKIP_1) | instid1(VALU_DEP_1)
	v_add_nc_u32_e32 v10, 1, v6
	s_wait_alu 0xfffd
	v_dual_cndmask_b32 v9, v6, v10 :: v_dual_mov_b32 v10, v5
.LBB28_10:                              ;   in Loop: Header=BB28_6 Depth=2
	s_wait_alu 0xfffe
	s_or_b32 exec_lo, exec_lo, s0
	s_delay_alu instid0(VALU_DEP_1) | instskip(NEXT) | instid1(VALU_DEP_2)
	v_mul_lo_u32 v6, v10, s6
	v_mul_lo_u32 v13, v9, s7
	v_mad_co_u64_u32 v[11:12], null, v9, s6, 0
	s_cmp_lt_i32 s4, 0x7a
	v_add3_u32 v6, v12, v13, v6
	v_sub_co_u32 v11, vcc_lo, v7, v11
	s_wait_alu 0xfffd
	s_delay_alu instid0(VALU_DEP_2)
	v_sub_co_ci_u32_e64 v12, null, v8, v6, vcc_lo
	s_cbranch_scc1 .LBB28_13
; %bb.11:                               ;   in Loop: Header=BB28_6 Depth=2
	s_mov_b32 s0, 0
	s_cmp_eq_u32 s4, 0x7a
	s_mov_b32 s13, 0
                                        ; implicit-def: $vgpr13_vgpr14
	s_cbranch_scc0 .LBB28_14
; %bb.12:                               ;   in Loop: Header=BB28_6 Depth=2
	v_lshlrev_b64_e32 v[13:14], 3, v[11:12]
	s_mov_b32 s13, -1
	s_delay_alu instid0(VALU_DEP_1) | instskip(SKIP_1) | instid1(VALU_DEP_2)
	v_sub_co_u32 v6, vcc_lo, s22, v13
	s_wait_alu 0xfffd
	v_sub_co_ci_u32_e64 v13, null, s23, v14, vcc_lo
	s_delay_alu instid0(VALU_DEP_2) | instskip(NEXT) | instid1(VALU_DEP_2)
	v_cvt_f64_u32_e32 v[15:16], v6
	v_cvt_f64_u32_e32 v[13:14], v13
	s_delay_alu instid0(VALU_DEP_1) | instskip(NEXT) | instid1(VALU_DEP_1)
	v_ldexp_f64 v[13:14], v[13:14], 32
	v_add_f64_e32 v[13:14], v[13:14], v[15:16]
	s_delay_alu instid0(VALU_DEP_1) | instskip(SKIP_2) | instid1(VALU_DEP_1)
	v_cmp_gt_f64_e32 vcc_lo, 0x10000000, v[13:14]
	s_wait_alu 0xfffd
	v_cndmask_b32_e64 v6, 0, 0x100, vcc_lo
	v_ldexp_f64 v[13:14], v[13:14], v6
	v_cndmask_b32_e64 v6, 0, 0xffffff80, vcc_lo
	s_delay_alu instid0(VALU_DEP_2) | instskip(SKIP_1) | instid1(TRANS32_DEP_1)
	v_rsq_f64_e32 v[15:16], v[13:14]
	v_cmp_class_f64_e64 vcc_lo, v[13:14], 0x260
	v_mul_f64_e32 v[17:18], v[13:14], v[15:16]
	v_mul_f64_e32 v[15:16], 0.5, v[15:16]
	s_delay_alu instid0(VALU_DEP_1) | instskip(NEXT) | instid1(VALU_DEP_1)
	v_fma_f64 v[19:20], -v[15:16], v[17:18], 0.5
	v_fma_f64 v[17:18], v[17:18], v[19:20], v[17:18]
	v_fma_f64 v[15:16], v[15:16], v[19:20], v[15:16]
	s_delay_alu instid0(VALU_DEP_2) | instskip(NEXT) | instid1(VALU_DEP_1)
	v_fma_f64 v[19:20], -v[17:18], v[17:18], v[13:14]
	v_fma_f64 v[17:18], v[19:20], v[15:16], v[17:18]
	s_delay_alu instid0(VALU_DEP_1) | instskip(NEXT) | instid1(VALU_DEP_1)
	v_fma_f64 v[19:20], -v[17:18], v[17:18], v[13:14]
	v_fma_f64 v[15:16], v[19:20], v[15:16], v[17:18]
	s_delay_alu instid0(VALU_DEP_1) | instskip(SKIP_2) | instid1(VALU_DEP_2)
	v_ldexp_f64 v[15:16], v[15:16], v6
	v_mul_lo_u32 v6, v10, s8
	s_wait_alu 0xfffd
	v_dual_cndmask_b32 v14, v16, v14 :: v_dual_cndmask_b32 v13, v15, v13
	s_delay_alu instid0(VALU_DEP_1) | instskip(NEXT) | instid1(VALU_DEP_1)
	v_fma_f64 v[13:14], v[13:14], 0.5, -0.5
	v_floor_f64_e32 v[13:14], v[13:14]
	s_delay_alu instid0(VALU_DEP_1) | instskip(NEXT) | instid1(VALU_DEP_1)
	v_add_f64_e64 v[13:14], v[1:2], -v[13:14]
	v_trunc_f64_e32 v[13:14], v[13:14]
	s_delay_alu instid0(VALU_DEP_1) | instskip(NEXT) | instid1(VALU_DEP_1)
	v_ldexp_f64 v[15:16], v[13:14], 0xffffffe0
	v_floor_f64_e32 v[15:16], v[15:16]
	s_delay_alu instid0(VALU_DEP_1) | instskip(SKIP_2) | instid1(VALU_DEP_3)
	v_fma_f64 v[13:14], 0xc1f00000, v[15:16], v[13:14]
	v_cvt_u32_f64_e32 v15, v[15:16]
	v_mad_co_u64_u32 v[16:17], null, v9, s8, 0
	v_cvt_u32_f64_e32 v14, v[13:14]
	v_mul_lo_u32 v13, v9, s9
	s_delay_alu instid0(VALU_DEP_1) | instskip(SKIP_1) | instid1(VALU_DEP_2)
	v_add3_u32 v17, v17, v13, v6
	v_mul_lo_u32 v6, v15, s16
	v_lshlrev_b64_e32 v[16:17], 4, v[16:17]
	v_sub_co_u32 v13, vcc_lo, s18, v14
	s_wait_alu 0xfffd
	v_sub_co_ci_u32_e64 v22, null, s19, v15, vcc_lo
	v_mul_lo_u32 v23, v14, s17
	v_mad_co_u64_u32 v[18:19], null, v14, s16, 0
	v_add_co_u32 v24, vcc_lo, v13, -1
	s_wait_alu 0xfffd
	v_add_co_ci_u32_e64 v25, null, -1, v22, vcc_lo
	v_sub_co_u32 v20, vcc_lo, v11, s24
	s_delay_alu instid0(VALU_DEP_4) | instskip(NEXT) | instid1(VALU_DEP_3)
	v_add3_u32 v19, v19, v23, v6
	v_mul_lo_u32 v6, v25, v13
	v_mul_lo_u32 v25, v24, v22
	v_mad_co_u64_u32 v[22:23], null, v24, v13, 0
	s_wait_alu 0xfffd
	v_subrev_co_ci_u32_e64 v21, null, s25, v12, vcc_lo
	v_lshlrev_b64_e32 v[18:19], 4, v[18:19]
	v_add_co_u32 v13, vcc_lo, s38, v16
	s_wait_alu 0xfffd
	v_add_co_ci_u32_e64 v16, null, s39, v17, vcc_lo
	v_lshlrev_b64_e32 v[20:21], 4, v[20:21]
	v_add3_u32 v23, v23, v25, v6
	v_add_co_u32 v6, vcc_lo, v13, v18
	s_wait_alu 0xfffd
	v_add_co_ci_u32_e64 v18, null, v16, v19, vcc_lo
	s_delay_alu instid0(VALU_DEP_3) | instskip(SKIP_4) | instid1(VALU_DEP_4)
	v_lshlrev_b64_e32 v[16:17], 3, v[22:23]
	v_lshlrev_b64_e32 v[13:14], 4, v[14:15]
	v_add_co_u32 v6, vcc_lo, v6, v20
	s_wait_alu 0xfffd
	v_add_co_ci_u32_e64 v15, null, v18, v21, vcc_lo
	v_and_b32_e32 v16, -16, v16
	s_delay_alu instid0(VALU_DEP_3) | instskip(SKIP_1) | instid1(VALU_DEP_3)
	v_add_co_u32 v6, vcc_lo, v6, v13
	s_wait_alu 0xfffd
	v_add_co_ci_u32_e64 v13, null, v15, v14, vcc_lo
	s_delay_alu instid0(VALU_DEP_2) | instskip(SKIP_1) | instid1(VALU_DEP_2)
	v_add_co_u32 v15, vcc_lo, v6, v16
	s_wait_alu 0xfffd
	v_add_co_ci_u32_e64 v16, null, v13, v17, vcc_lo
	v_mov_b32_e32 v6, v5
	s_delay_alu instid0(VALU_DEP_3) | instskip(SKIP_1) | instid1(VALU_DEP_3)
	v_add_co_u32 v13, vcc_lo, v15, 16
	s_wait_alu 0xfffd
	v_add_co_ci_u32_e64 v14, null, 0, v16, vcc_lo
	flat_store_b64 v[15:16], v[5:6] offset:16
	s_branch .LBB28_14
.LBB28_13:                              ;   in Loop: Header=BB28_6 Depth=2
	s_mov_b32 s0, -1
	s_mov_b32 s13, 0
                                        ; implicit-def: $vgpr13_vgpr14
.LBB28_14:                              ;   in Loop: Header=BB28_6 Depth=2
	s_wait_alu 0xfffe
	s_and_b32 vcc_lo, exec_lo, s0
	s_wait_alu 0xfffe
	s_cbranch_vccz .LBB28_17
; %bb.15:                               ;   in Loop: Header=BB28_6 Depth=2
	s_cmp_eq_u32 s4, 0x79
                                        ; implicit-def: $vgpr13_vgpr14
	s_cbranch_scc0 .LBB28_17
; %bb.16:                               ;   in Loop: Header=BB28_6 Depth=2
	v_lshlrev_b64_e32 v[13:14], 3, v[11:12]
	s_mov_b32 s13, -1
	s_delay_alu instid0(VALU_DEP_1) | instskip(NEXT) | instid1(VALU_DEP_2)
	v_cvt_f64_u32_e32 v[14:15], v14
	v_or_b32_e32 v6, 1, v13
	s_delay_alu instid0(VALU_DEP_1) | instskip(NEXT) | instid1(VALU_DEP_3)
	v_cvt_f64_u32_e32 v[16:17], v6
	v_ldexp_f64 v[13:14], v[14:15], 32
	s_delay_alu instid0(VALU_DEP_1) | instskip(NEXT) | instid1(VALU_DEP_1)
	v_add_f64_e32 v[13:14], v[13:14], v[16:17]
	v_cmp_gt_f64_e32 vcc_lo, 0x10000000, v[13:14]
	s_wait_alu 0xfffd
	v_cndmask_b32_e64 v6, 0, 0x100, vcc_lo
	s_delay_alu instid0(VALU_DEP_1) | instskip(SKIP_1) | instid1(VALU_DEP_2)
	v_ldexp_f64 v[13:14], v[13:14], v6
	v_cndmask_b32_e64 v6, 0, 0xffffff80, vcc_lo
	v_rsq_f64_e32 v[15:16], v[13:14]
	v_cmp_class_f64_e64 vcc_lo, v[13:14], 0x260
	s_delay_alu instid0(TRANS32_DEP_1) | instskip(SKIP_1) | instid1(VALU_DEP_1)
	v_mul_f64_e32 v[17:18], v[13:14], v[15:16]
	v_mul_f64_e32 v[15:16], 0.5, v[15:16]
	v_fma_f64 v[19:20], -v[15:16], v[17:18], 0.5
	s_delay_alu instid0(VALU_DEP_1) | instskip(SKIP_1) | instid1(VALU_DEP_2)
	v_fma_f64 v[17:18], v[17:18], v[19:20], v[17:18]
	v_fma_f64 v[15:16], v[15:16], v[19:20], v[15:16]
	v_fma_f64 v[19:20], -v[17:18], v[17:18], v[13:14]
	s_delay_alu instid0(VALU_DEP_1) | instskip(NEXT) | instid1(VALU_DEP_1)
	v_fma_f64 v[17:18], v[19:20], v[15:16], v[17:18]
	v_fma_f64 v[19:20], -v[17:18], v[17:18], v[13:14]
	s_delay_alu instid0(VALU_DEP_1) | instskip(SKIP_1) | instid1(VALU_DEP_2)
	v_fma_f64 v[15:16], v[19:20], v[15:16], v[17:18]
	v_mul_lo_u32 v18, v9, s9
	v_ldexp_f64 v[15:16], v[15:16], v6
	v_mul_lo_u32 v6, v10, s8
	v_mad_co_u64_u32 v[9:10], null, v9, s8, 0
	s_delay_alu instid0(VALU_DEP_1) | instskip(NEXT) | instid1(VALU_DEP_1)
	v_add3_u32 v10, v10, v18, v6
	v_lshlrev_b64_e32 v[9:10], 4, v[9:10]
	s_wait_alu 0xfffd
	v_dual_cndmask_b32 v14, v16, v14 :: v_dual_cndmask_b32 v13, v15, v13
	s_delay_alu instid0(VALU_DEP_1) | instskip(NEXT) | instid1(VALU_DEP_1)
	v_add_f64_e32 v[13:14], -1.0, v[13:14]
	v_mul_f64_e32 v[13:14], 0.5, v[13:14]
	s_delay_alu instid0(VALU_DEP_1) | instskip(NEXT) | instid1(VALU_DEP_1)
	v_trunc_f64_e32 v[13:14], v[13:14]
	v_ldexp_f64 v[15:16], v[13:14], 0xffffffe0
	s_delay_alu instid0(VALU_DEP_1) | instskip(NEXT) | instid1(VALU_DEP_1)
	v_floor_f64_e32 v[15:16], v[15:16]
	v_fma_f64 v[13:14], 0xc1f00000, v[15:16], v[13:14]
	v_cvt_u32_f64_e32 v15, v[15:16]
	s_delay_alu instid0(VALU_DEP_2) | instskip(NEXT) | instid1(VALU_DEP_1)
	v_cvt_u32_f64_e32 v14, v[13:14]
	v_mad_co_u64_u32 v[16:17], null, v14, v14, v[14:15]
	v_mul_lo_u32 v19, v14, v15
	v_mul_lo_u32 v15, s16, v15
	;; [unrolled: 1-line block ×3, first 2 shown]
	v_mad_co_u64_u32 v[13:14], null, s16, v14, s[16:17]
	s_delay_alu instid0(VALU_DEP_4) | instskip(NEXT) | instid1(VALU_DEP_2)
	v_add3_u32 v17, v19, v17, v19
	v_add3_u32 v14, v20, v14, v15
	s_delay_alu instid0(VALU_DEP_2) | instskip(NEXT) | instid1(VALU_DEP_2)
	v_lshrrev_b64 v[15:16], 1, v[16:17]
	v_lshlrev_b64_e32 v[13:14], 4, v[13:14]
	s_delay_alu instid0(VALU_DEP_2) | instskip(SKIP_1) | instid1(VALU_DEP_3)
	v_sub_co_u32 v11, vcc_lo, v11, v15
	s_wait_alu 0xfffd
	v_sub_co_ci_u32_e64 v12, null, v12, v16, vcc_lo
	v_add_co_u32 v6, vcc_lo, s38, v9
	s_wait_alu 0xfffd
	v_add_co_ci_u32_e64 v15, null, s39, v10, vcc_lo
	s_delay_alu instid0(VALU_DEP_3) | instskip(NEXT) | instid1(VALU_DEP_3)
	v_lshlrev_b64_e32 v[9:10], 4, v[11:12]
	v_add_co_u32 v6, vcc_lo, v6, v13
	s_wait_alu 0xfffd
	s_delay_alu instid0(VALU_DEP_3) | instskip(NEXT) | instid1(VALU_DEP_2)
	v_add_co_ci_u32_e64 v11, null, v15, v14, vcc_lo
	v_add_co_u32 v13, vcc_lo, v6, v9
	s_wait_alu 0xfffd
	s_delay_alu instid0(VALU_DEP_2)
	v_add_co_ci_u32_e64 v14, null, v11, v10, vcc_lo
	v_mov_b32_e32 v6, v5
	flat_store_b64 v[13:14], v[5:6]
.LBB28_17:                              ;   in Loop: Header=BB28_6 Depth=2
	s_wait_alu 0xfffe
	s_and_b32 vcc_lo, exec_lo, s13
	s_wait_alu 0xfffe
	s_cbranch_vccz .LBB28_5
; %bb.18:                               ;   in Loop: Header=BB28_6 Depth=2
	v_mov_b32_e32 v6, v5
	flat_store_b64 v[13:14], v[5:6] offset:8
	s_branch .LBB28_5
.LBB28_19:
	s_endpgm
	.section	.rodata,"a",@progbits
	.p2align	6, 0x0
	.amdhsa_kernel _ZL18rocblas_trtri_fillILi128E19rocblas_complex_numIdEPKPS1_EvP15_rocblas_handle13rocblas_fill_ililT1_llii
		.amdhsa_group_segment_fixed_size 0
		.amdhsa_private_segment_fixed_size 0
		.amdhsa_kernarg_size 328
		.amdhsa_user_sgpr_count 2
		.amdhsa_user_sgpr_dispatch_ptr 0
		.amdhsa_user_sgpr_queue_ptr 0
		.amdhsa_user_sgpr_kernarg_segment_ptr 1
		.amdhsa_user_sgpr_dispatch_id 0
		.amdhsa_user_sgpr_private_segment_size 0
		.amdhsa_wavefront_size32 1
		.amdhsa_uses_dynamic_stack 0
		.amdhsa_enable_private_segment 0
		.amdhsa_system_sgpr_workgroup_id_x 1
		.amdhsa_system_sgpr_workgroup_id_y 0
		.amdhsa_system_sgpr_workgroup_id_z 1
		.amdhsa_system_sgpr_workgroup_info 0
		.amdhsa_system_vgpr_workitem_id 0
		.amdhsa_next_free_vgpr 26
		.amdhsa_next_free_sgpr 47
		.amdhsa_reserve_vcc 1
		.amdhsa_float_round_mode_32 0
		.amdhsa_float_round_mode_16_64 0
		.amdhsa_float_denorm_mode_32 3
		.amdhsa_float_denorm_mode_16_64 3
		.amdhsa_fp16_overflow 0
		.amdhsa_workgroup_processor_mode 1
		.amdhsa_memory_ordered 1
		.amdhsa_forward_progress 1
		.amdhsa_inst_pref_size 20
		.amdhsa_round_robin_scheduling 0
		.amdhsa_exception_fp_ieee_invalid_op 0
		.amdhsa_exception_fp_denorm_src 0
		.amdhsa_exception_fp_ieee_div_zero 0
		.amdhsa_exception_fp_ieee_overflow 0
		.amdhsa_exception_fp_ieee_underflow 0
		.amdhsa_exception_fp_ieee_inexact 0
		.amdhsa_exception_int_div_zero 0
	.end_amdhsa_kernel
	.section	.text._ZL18rocblas_trtri_fillILi128E19rocblas_complex_numIdEPKPS1_EvP15_rocblas_handle13rocblas_fill_ililT1_llii,"axG",@progbits,_ZL18rocblas_trtri_fillILi128E19rocblas_complex_numIdEPKPS1_EvP15_rocblas_handle13rocblas_fill_ililT1_llii,comdat
.Lfunc_end28:
	.size	_ZL18rocblas_trtri_fillILi128E19rocblas_complex_numIdEPKPS1_EvP15_rocblas_handle13rocblas_fill_ililT1_llii, .Lfunc_end28-_ZL18rocblas_trtri_fillILi128E19rocblas_complex_numIdEPKPS1_EvP15_rocblas_handle13rocblas_fill_ililT1_llii
                                        ; -- End function
	.set _ZL18rocblas_trtri_fillILi128E19rocblas_complex_numIdEPKPS1_EvP15_rocblas_handle13rocblas_fill_ililT1_llii.num_vgpr, 26
	.set _ZL18rocblas_trtri_fillILi128E19rocblas_complex_numIdEPKPS1_EvP15_rocblas_handle13rocblas_fill_ililT1_llii.num_agpr, 0
	.set _ZL18rocblas_trtri_fillILi128E19rocblas_complex_numIdEPKPS1_EvP15_rocblas_handle13rocblas_fill_ililT1_llii.numbered_sgpr, 47
	.set _ZL18rocblas_trtri_fillILi128E19rocblas_complex_numIdEPKPS1_EvP15_rocblas_handle13rocblas_fill_ililT1_llii.num_named_barrier, 0
	.set _ZL18rocblas_trtri_fillILi128E19rocblas_complex_numIdEPKPS1_EvP15_rocblas_handle13rocblas_fill_ililT1_llii.private_seg_size, 0
	.set _ZL18rocblas_trtri_fillILi128E19rocblas_complex_numIdEPKPS1_EvP15_rocblas_handle13rocblas_fill_ililT1_llii.uses_vcc, 1
	.set _ZL18rocblas_trtri_fillILi128E19rocblas_complex_numIdEPKPS1_EvP15_rocblas_handle13rocblas_fill_ililT1_llii.uses_flat_scratch, 0
	.set _ZL18rocblas_trtri_fillILi128E19rocblas_complex_numIdEPKPS1_EvP15_rocblas_handle13rocblas_fill_ililT1_llii.has_dyn_sized_stack, 0
	.set _ZL18rocblas_trtri_fillILi128E19rocblas_complex_numIdEPKPS1_EvP15_rocblas_handle13rocblas_fill_ililT1_llii.has_recursion, 0
	.set _ZL18rocblas_trtri_fillILi128E19rocblas_complex_numIdEPKPS1_EvP15_rocblas_handle13rocblas_fill_ililT1_llii.has_indirect_call, 0
	.section	.AMDGPU.csdata,"",@progbits
; Kernel info:
; codeLenInByte = 2508
; TotalNumSgprs: 49
; NumVgprs: 26
; ScratchSize: 0
; MemoryBound: 0
; FloatMode: 240
; IeeeMode: 1
; LDSByteSize: 0 bytes/workgroup (compile time only)
; SGPRBlocks: 0
; VGPRBlocks: 3
; NumSGPRsForWavesPerEU: 49
; NumVGPRsForWavesPerEU: 26
; Occupancy: 16
; WaveLimiterHint : 1
; COMPUTE_PGM_RSRC2:SCRATCH_EN: 0
; COMPUTE_PGM_RSRC2:USER_SGPR: 2
; COMPUTE_PGM_RSRC2:TRAP_HANDLER: 0
; COMPUTE_PGM_RSRC2:TGID_X_EN: 1
; COMPUTE_PGM_RSRC2:TGID_Y_EN: 0
; COMPUTE_PGM_RSRC2:TGID_Z_EN: 1
; COMPUTE_PGM_RSRC2:TIDIG_COMP_CNT: 0
	.section	.text._ZL26rocblas_trtri_small_kernelILi16E19rocblas_complex_numIdEPKPKS1_PKPS1_Ev13rocblas_fill_17rocblas_diagonal_iT1_lillT2_lilli,"axG",@progbits,_ZL26rocblas_trtri_small_kernelILi16E19rocblas_complex_numIdEPKPKS1_PKPS1_Ev13rocblas_fill_17rocblas_diagonal_iT1_lillT2_lilli,comdat
	.globl	_ZL26rocblas_trtri_small_kernelILi16E19rocblas_complex_numIdEPKPKS1_PKPS1_Ev13rocblas_fill_17rocblas_diagonal_iT1_lillT2_lilli ; -- Begin function _ZL26rocblas_trtri_small_kernelILi16E19rocblas_complex_numIdEPKPKS1_PKPS1_Ev13rocblas_fill_17rocblas_diagonal_iT1_lillT2_lilli
	.p2align	8
	.type	_ZL26rocblas_trtri_small_kernelILi16E19rocblas_complex_numIdEPKPKS1_PKPS1_Ev13rocblas_fill_17rocblas_diagonal_iT1_lillT2_lilli,@function
_ZL26rocblas_trtri_small_kernelILi16E19rocblas_complex_numIdEPKPKS1_PKPS1_Ev13rocblas_fill_17rocblas_diagonal_iT1_lillT2_lilli: ; @_ZL26rocblas_trtri_small_kernelILi16E19rocblas_complex_numIdEPKPKS1_PKPS1_Ev13rocblas_fill_17rocblas_diagonal_iT1_lillT2_lilli
; %bb.0:
	s_load_b32 s15, s[0:1], 0x60
	s_lshr_b32 s2, ttmp7, 16
	s_wait_kmcnt 0x0
	s_cmp_ge_u32 s2, s15
	s_cbranch_scc1 .LBB29_43
; %bb.1:
	s_clause 0x5
	s_load_b32 s22, s[0:1], 0x20
	s_load_b96 s[16:18], s[0:1], 0x40
	s_load_b128 s[4:7], s[0:1], 0x30
	s_load_b64 s[24:25], s[0:1], 0x58
	s_load_b96 s[12:14], s[0:1], 0x0
	s_load_b128 s[8:11], s[0:1], 0x10
	s_mov_b32 s3, 0
	s_mov_b32 s20, ttmp9
	s_mov_b32 s21, s3
	s_mov_b32 s27, s3
	v_dual_mov_b32 v11, 0 :: v_dual_lshlrev_b32 v12, 4, v0
	v_add_nc_u32_e32 v17, 1, v0
	v_lshlrev_b32_e32 v21, 4, v0
	s_wait_kmcnt 0x0
	s_ashr_i32 s23, s22, 31
	s_ashr_i32 s35, s18, 31
	s_mul_u64 s[4:5], s[4:5], s[20:21]
	s_mov_b32 s34, s18
	s_cmp_gt_i32 s14, 0
	s_mul_u64 s[20:21], s[24:25], s[20:21]
	s_cselect_b32 s28, -1, 0
	s_cmp_lg_u32 s12, 0x7a
	v_mul_lo_u32 v1, v0, s14
	s_cselect_b32 s29, -1, 0
	s_add_co_i32 s26, s14, -1
	s_cmp_lg_u32 s13, 0x84
	s_mul_u64 s[12:13], s[22:23], s[26:27]
	s_cselect_b32 s30, -1, 0
	s_lshl_b64 s[4:5], s[4:5], 4
	s_lshl_b64 s[12:13], s[12:13], 4
	;; [unrolled: 1-line block ×3, first 2 shown]
	s_add_nc_u64 s[12:13], s[4:5], s[12:13]
	s_lshl_b64 s[20:21], s[20:21], 4
	s_add_nc_u64 s[18:19], s[12:13], s[10:11]
	s_lshl_b64 s[12:13], s[22:23], 4
	s_mul_u64 s[22:23], s[34:35], s[26:27]
	s_lshl_b64 s[16:17], s[16:17], 4
	s_lshl_b64 s[22:23], s[22:23], 4
	v_sub_nc_u32_e32 v2, s26, v0
	s_add_nc_u64 s[22:23], s[20:21], s[22:23]
	v_add_co_u32 v15, s1, s18, v12
	s_add_nc_u64 s[22:23], s[22:23], s[16:17]
	s_lshl_b32 s31, s14, 4
	v_add_co_ci_u32_e64 v16, null, s19, 0, s1
	v_add_co_u32 v19, s1, s22, v12
	v_cmp_gt_u32_e64 s0, s14, v0
	v_add_lshl_u32 v13, v1, v0, 4
	v_lshlrev_b32_e32 v14, 4, v2
	v_add_nc_u32_e32 v18, s31, v12
	s_wait_alu 0xf1ff
	v_add_co_ci_u32_e64 v20, null, s23, 0, s1
	s_lshl_b64 s[22:23], s[34:35], 4
	s_sub_nc_u64 s[18:19], 0, s[12:13]
	s_add_co_i32 s33, s31, 16
	s_wait_alu 0xfffe
	s_sub_nc_u64 s[24:25], 0, s[22:23]
	s_branch .LBB29_4
.LBB29_2:                               ;   in Loop: Header=BB29_4 Depth=1
	s_wait_alu 0xfffe
	s_or_b32 exec_lo, exec_lo, s26
.LBB29_3:                               ;   in Loop: Header=BB29_4 Depth=1
	s_add_co_i32 s2, s2, 0x10000
	s_delay_alu instid0(SALU_CYCLE_1)
	s_cmp_lt_u32 s2, s15
	s_cbranch_scc0 .LBB29_43
.LBB29_4:                               ; =>This Loop Header: Depth=1
                                        ;     Child Loop BB29_8 Depth 2
                                        ;     Child Loop BB29_12 Depth 2
                                        ;     Child Loop BB29_26 Depth 2
                                        ;       Child Loop BB29_31 Depth 3
                                        ;     Child Loop BB29_38 Depth 2
                                        ;     Child Loop BB29_42 Depth 2
	s_and_not1_b32 vcc_lo, exec_lo, s28
	s_wait_alu 0xfffe
	s_cbranch_vccnz .LBB29_3
; %bb.5:                                ;   in Loop: Header=BB29_4 Depth=1
	s_lshl_b64 s[26:27], s[2:3], 3
	s_wait_alu 0xfffe
	s_add_nc_u64 s[34:35], s[6:7], s[26:27]
	global_load_b64 v[9:10], v11, s[34:35]
	s_and_saveexec_b32 s34, s0
	s_cbranch_execz .LBB29_13
; %bb.6:                                ;   in Loop: Header=BB29_4 Depth=1
	s_add_nc_u64 s[26:27], s[8:9], s[26:27]
	s_and_not1_b32 vcc_lo, exec_lo, s29
	global_load_b64 v[1:2], v11, s[26:27]
	s_mov_b32 s1, -1
	s_wait_alu 0xfffe
	s_cbranch_vccnz .LBB29_10
; %bb.7:                                ;   in Loop: Header=BB29_4 Depth=1
	s_wait_loadcnt 0x0
	v_add_co_u32 v3, vcc_lo, v1, v15
	s_wait_alu 0xfffd
	v_add_co_ci_u32_e64 v4, null, v2, v16, vcc_lo
	v_mov_b32_e32 v5, v14
	s_mov_b32 s26, 0
	s_mov_b32 s27, s14
.LBB29_8:                               ;   Parent Loop BB29_4 Depth=1
                                        ; =>  This Inner Loop Header: Depth=2
	flat_load_b128 v[22:25], v[3:4]
	s_wait_alu 0xfffe
	s_add_co_i32 s27, s27, -1
	v_add_co_u32 v3, vcc_lo, v3, s18
	s_wait_alu 0xfffe
	v_cmp_le_u32_e64 s1, s27, v0
	s_wait_alu 0xfffd
	v_add_co_ci_u32_e64 v4, null, s19, v4, vcc_lo
	s_or_b32 s26, s1, s26
	s_wait_loadcnt_dscnt 0x0
	ds_store_2addr_b64 v5, v[22:23], v[24:25] offset1:1
	v_add_nc_u32_e32 v5, s31, v5
	s_wait_alu 0xfffe
	s_and_not1_b32 exec_lo, exec_lo, s26
	s_cbranch_execnz .LBB29_8
; %bb.9:                                ;   in Loop: Header=BB29_4 Depth=1
	s_or_b32 exec_lo, exec_lo, s26
	s_mov_b32 s1, 0
.LBB29_10:                              ;   in Loop: Header=BB29_4 Depth=1
	s_wait_alu 0xfffe
	s_and_b32 vcc_lo, exec_lo, s1
	s_wait_alu 0xfffe
	s_cbranch_vccz .LBB29_13
; %bb.11:                               ;   in Loop: Header=BB29_4 Depth=1
	s_wait_loadcnt 0x0
	v_add_co_u32 v1, vcc_lo, v1, s10
	s_wait_alu 0xfffd
	v_add_co_ci_u32_e64 v2, null, s11, v2, vcc_lo
	v_dual_mov_b32 v3, v12 :: v_dual_mov_b32 v4, v17
	s_delay_alu instid0(VALU_DEP_3) | instskip(SKIP_1) | instid1(VALU_DEP_3)
	v_add_co_u32 v1, vcc_lo, v1, s4
	s_wait_alu 0xfffd
	v_add_co_ci_u32_e64 v2, null, s5, v2, vcc_lo
	s_mov_b32 s26, 0
	v_add_co_u32 v1, vcc_lo, v1, v21
	s_wait_alu 0xfffd
	v_add_co_ci_u32_e64 v2, null, 0, v2, vcc_lo
.LBB29_12:                              ;   Parent Loop BB29_4 Depth=1
                                        ; =>  This Inner Loop Header: Depth=2
	flat_load_b128 v[5:8], v[1:2]
	v_add_nc_u32_e32 v4, -1, v4
	v_add_co_u32 v1, vcc_lo, v1, s12
	s_wait_alu 0xfffd
	v_add_co_ci_u32_e64 v2, null, s13, v2, vcc_lo
	s_delay_alu instid0(VALU_DEP_3)
	v_cmp_eq_u32_e64 s1, 0, v4
	s_wait_alu 0xfffe
	s_or_b32 s26, s1, s26
	s_wait_loadcnt_dscnt 0x0
	ds_store_2addr_b64 v3, v[5:6], v[7:8] offset1:1
	v_add_nc_u32_e32 v3, s31, v3
	s_wait_alu 0xfffe
	s_and_not1_b32 exec_lo, exec_lo, s26
	s_cbranch_execnz .LBB29_12
.LBB29_13:                              ;   in Loop: Header=BB29_4 Depth=1
	s_wait_alu 0xfffe
	s_or_b32 exec_lo, exec_lo, s34
	; wave barrier
	s_wait_loadcnt_dscnt 0x0
	global_inv scope:SCOPE_SE
	s_and_saveexec_b32 s26, s0
	s_cbranch_execz .LBB29_24
; %bb.14:                               ;   in Loop: Header=BB29_4 Depth=1
	s_and_not1_b32 vcc_lo, exec_lo, s30
	s_wait_alu 0xfffe
	s_cbranch_vccnz .LBB29_22
; %bb.15:                               ;   in Loop: Header=BB29_4 Depth=1
	ds_load_b128 v[1:4], v13
	v_mov_b32_e32 v7, 0
	v_dual_mov_b32 v8, 0 :: v_dual_mov_b32 v5, 0
	v_mov_b32_e32 v6, 0x3ff00000
	s_wait_dscnt 0x0
	v_cmp_neq_f64_e32 vcc_lo, 0, v[1:2]
	v_cmp_neq_f64_e64 s1, 0, v[3:4]
	s_or_b32 s27, vcc_lo, s1
	s_wait_alu 0xfffe
	s_and_saveexec_b32 s1, s27
	s_cbranch_execz .LBB29_21
; %bb.16:                               ;   in Loop: Header=BB29_4 Depth=1
	v_cmp_ngt_f64_e64 s27, |v[1:2]|, |v[3:4]|
                                        ; implicit-def: $vgpr7_vgpr8
	s_and_saveexec_b32 s34, s27
	s_wait_alu 0xfffe
	s_xor_b32 s27, exec_lo, s34
	s_cbranch_execz .LBB29_18
; %bb.17:                               ;   in Loop: Header=BB29_4 Depth=1
	v_div_scale_f64 v[5:6], null, v[3:4], v[3:4], v[1:2]
	v_div_scale_f64 v[24:25], vcc_lo, v[1:2], v[3:4], v[1:2]
	s_delay_alu instid0(VALU_DEP_2) | instskip(NEXT) | instid1(TRANS32_DEP_1)
	v_rcp_f64_e32 v[7:8], v[5:6]
	v_fma_f64 v[22:23], -v[5:6], v[7:8], 1.0
	s_delay_alu instid0(VALU_DEP_1) | instskip(NEXT) | instid1(VALU_DEP_1)
	v_fma_f64 v[7:8], v[7:8], v[22:23], v[7:8]
	v_fma_f64 v[22:23], -v[5:6], v[7:8], 1.0
	s_delay_alu instid0(VALU_DEP_1) | instskip(NEXT) | instid1(VALU_DEP_1)
	v_fma_f64 v[7:8], v[7:8], v[22:23], v[7:8]
	v_mul_f64_e32 v[22:23], v[24:25], v[7:8]
	s_delay_alu instid0(VALU_DEP_1) | instskip(SKIP_1) | instid1(VALU_DEP_1)
	v_fma_f64 v[5:6], -v[5:6], v[22:23], v[24:25]
	s_wait_alu 0xfffd
	v_div_fmas_f64 v[5:6], v[5:6], v[7:8], v[22:23]
	s_delay_alu instid0(VALU_DEP_1) | instskip(NEXT) | instid1(VALU_DEP_1)
	v_div_fixup_f64 v[5:6], v[5:6], v[3:4], v[1:2]
	v_fma_f64 v[1:2], v[1:2], v[5:6], v[3:4]
	s_delay_alu instid0(VALU_DEP_1) | instskip(NEXT) | instid1(VALU_DEP_1)
	v_div_scale_f64 v[3:4], null, v[1:2], v[1:2], 1.0
	v_rcp_f64_e32 v[7:8], v[3:4]
	s_delay_alu instid0(TRANS32_DEP_1) | instskip(NEXT) | instid1(VALU_DEP_1)
	v_fma_f64 v[22:23], -v[3:4], v[7:8], 1.0
	v_fma_f64 v[7:8], v[7:8], v[22:23], v[7:8]
	s_delay_alu instid0(VALU_DEP_1) | instskip(NEXT) | instid1(VALU_DEP_1)
	v_fma_f64 v[22:23], -v[3:4], v[7:8], 1.0
	v_fma_f64 v[7:8], v[7:8], v[22:23], v[7:8]
	v_div_scale_f64 v[22:23], vcc_lo, 1.0, v[1:2], 1.0
	s_delay_alu instid0(VALU_DEP_1) | instskip(NEXT) | instid1(VALU_DEP_1)
	v_mul_f64_e32 v[24:25], v[22:23], v[7:8]
	v_fma_f64 v[3:4], -v[3:4], v[24:25], v[22:23]
	s_wait_alu 0xfffd
	s_delay_alu instid0(VALU_DEP_1) | instskip(NEXT) | instid1(VALU_DEP_1)
	v_div_fmas_f64 v[3:4], v[3:4], v[7:8], v[24:25]
	v_div_fixup_f64 v[7:8], v[3:4], v[1:2], 1.0
                                        ; implicit-def: $vgpr1_vgpr2
	s_delay_alu instid0(VALU_DEP_1)
	v_mul_f64_e32 v[5:6], v[5:6], v[7:8]
	v_xor_b32_e32 v8, 0x80000000, v8
.LBB29_18:                              ;   in Loop: Header=BB29_4 Depth=1
	s_wait_alu 0xfffe
	s_and_not1_saveexec_b32 s27, s27
	s_cbranch_execz .LBB29_20
; %bb.19:                               ;   in Loop: Header=BB29_4 Depth=1
	v_div_scale_f64 v[5:6], null, v[1:2], v[1:2], v[3:4]
	v_div_scale_f64 v[24:25], vcc_lo, v[3:4], v[1:2], v[3:4]
	s_delay_alu instid0(VALU_DEP_2) | instskip(NEXT) | instid1(TRANS32_DEP_1)
	v_rcp_f64_e32 v[7:8], v[5:6]
	v_fma_f64 v[22:23], -v[5:6], v[7:8], 1.0
	s_delay_alu instid0(VALU_DEP_1) | instskip(NEXT) | instid1(VALU_DEP_1)
	v_fma_f64 v[7:8], v[7:8], v[22:23], v[7:8]
	v_fma_f64 v[22:23], -v[5:6], v[7:8], 1.0
	s_delay_alu instid0(VALU_DEP_1) | instskip(NEXT) | instid1(VALU_DEP_1)
	v_fma_f64 v[7:8], v[7:8], v[22:23], v[7:8]
	v_mul_f64_e32 v[22:23], v[24:25], v[7:8]
	s_delay_alu instid0(VALU_DEP_1) | instskip(SKIP_1) | instid1(VALU_DEP_1)
	v_fma_f64 v[5:6], -v[5:6], v[22:23], v[24:25]
	s_wait_alu 0xfffd
	v_div_fmas_f64 v[5:6], v[5:6], v[7:8], v[22:23]
	s_delay_alu instid0(VALU_DEP_1) | instskip(NEXT) | instid1(VALU_DEP_1)
	v_div_fixup_f64 v[7:8], v[5:6], v[1:2], v[3:4]
	v_fma_f64 v[1:2], v[3:4], v[7:8], v[1:2]
	s_delay_alu instid0(VALU_DEP_1) | instskip(NEXT) | instid1(VALU_DEP_1)
	v_div_scale_f64 v[3:4], null, v[1:2], v[1:2], 1.0
	v_rcp_f64_e32 v[5:6], v[3:4]
	s_delay_alu instid0(TRANS32_DEP_1) | instskip(NEXT) | instid1(VALU_DEP_1)
	v_fma_f64 v[22:23], -v[3:4], v[5:6], 1.0
	v_fma_f64 v[5:6], v[5:6], v[22:23], v[5:6]
	s_delay_alu instid0(VALU_DEP_1) | instskip(NEXT) | instid1(VALU_DEP_1)
	v_fma_f64 v[22:23], -v[3:4], v[5:6], 1.0
	v_fma_f64 v[5:6], v[5:6], v[22:23], v[5:6]
	v_div_scale_f64 v[22:23], vcc_lo, 1.0, v[1:2], 1.0
	s_delay_alu instid0(VALU_DEP_1) | instskip(NEXT) | instid1(VALU_DEP_1)
	v_mul_f64_e32 v[24:25], v[22:23], v[5:6]
	v_fma_f64 v[3:4], -v[3:4], v[24:25], v[22:23]
	s_wait_alu 0xfffd
	s_delay_alu instid0(VALU_DEP_1) | instskip(NEXT) | instid1(VALU_DEP_1)
	v_div_fmas_f64 v[3:4], v[3:4], v[5:6], v[24:25]
	v_div_fixup_f64 v[5:6], v[3:4], v[1:2], 1.0
	s_delay_alu instid0(VALU_DEP_1)
	v_mul_f64_e64 v[7:8], v[7:8], -v[5:6]
.LBB29_20:                              ;   in Loop: Header=BB29_4 Depth=1
	s_wait_alu 0xfffe
	s_or_b32 exec_lo, exec_lo, s27
.LBB29_21:                              ;   in Loop: Header=BB29_4 Depth=1
	s_wait_alu 0xfffe
	s_or_b32 exec_lo, exec_lo, s1
	s_branch .LBB29_23
.LBB29_22:                              ;   in Loop: Header=BB29_4 Depth=1
	v_mov_b32_e32 v7, 0
	v_dual_mov_b32 v8, 0 :: v_dual_mov_b32 v5, 0
	v_mov_b32_e32 v6, 0x3ff00000
.LBB29_23:                              ;   in Loop: Header=BB29_4 Depth=1
	ds_store_b128 v13, v[5:8]
.LBB29_24:                              ;   in Loop: Header=BB29_4 Depth=1
	s_wait_alu 0xfffe
	s_or_b32 exec_lo, exec_lo, s26
	v_mov_b32_e32 v5, v18
	s_mov_b32 s1, 0
	s_mov_b32 s26, 16
	; wave barrier
	s_wait_loadcnt_dscnt 0x0
	global_inv scope:SCOPE_SE
	s_branch .LBB29_26
.LBB29_25:                              ;   in Loop: Header=BB29_26 Depth=2
	v_add_nc_u32_e32 v5, s31, v5
	s_add_co_i32 s26, s26, s33
	s_cmp_eq_u32 s1, s14
	s_wait_loadcnt 0x0
	; wave barrier
	global_inv scope:SCOPE_SE
	s_cbranch_scc1 .LBB29_35
.LBB29_26:                              ;   Parent Loop BB29_4 Depth=1
                                        ; =>  This Loop Header: Depth=2
                                        ;       Child Loop BB29_31 Depth 3
	v_mov_b32_e32 v1, 0
	v_dual_mov_b32 v2, 0 :: v_dual_mov_b32 v3, 0
	v_mov_b32_e32 v4, 0
	s_wait_alu 0xfffe
	s_mul_i32 s27, s1, s14
	s_mov_b32 s34, exec_lo
	v_cmpx_lt_u32_e64 s1, v0
	s_cbranch_execz .LBB29_28
; %bb.27:                               ;   in Loop: Header=BB29_26 Depth=2
	s_wait_alu 0xfffe
	s_lshl_b32 s35, s27, 4
	s_lshl_b32 s36, s1, 4
	s_wait_alu 0xfffe
	v_add_nc_u32_e32 v6, s35, v12
	s_add_co_i32 s36, s36, s35
	s_wait_alu 0xfffe
	v_mov_b32_e32 v1, s36
	ds_load_b128 v[1:4], v1
	ds_load_b128 v[22:25], v6
	s_wait_dscnt 0x0
	v_mul_f64_e32 v[6:7], v[3:4], v[24:25]
	v_mul_f64_e32 v[24:25], v[1:2], v[24:25]
	s_delay_alu instid0(VALU_DEP_2) | instskip(NEXT) | instid1(VALU_DEP_2)
	v_fma_f64 v[1:2], v[1:2], v[22:23], -v[6:7]
	v_fma_f64 v[3:4], v[3:4], v[22:23], v[24:25]
	s_delay_alu instid0(VALU_DEP_2) | instskip(NEXT) | instid1(VALU_DEP_2)
	v_add_f64_e32 v[1:2], 0, v[1:2]
	v_add_f64_e32 v[3:4], 0, v[3:4]
.LBB29_28:                              ;   in Loop: Header=BB29_26 Depth=2
	s_wait_alu 0xfffe
	s_or_b32 exec_lo, exec_lo, s34
	s_add_co_i32 s1, s1, 1
	s_wait_loadcnt 0x0
	s_wait_alu 0xfffe
	s_cmp_ge_i32 s1, s14
	; wave barrier
	global_inv scope:SCOPE_SE
	s_cbranch_scc1 .LBB29_25
; %bb.29:                               ;   in Loop: Header=BB29_26 Depth=2
	v_lshl_add_u32 v6, s27, 4, v12
	v_mov_b32_e32 v7, v5
	s_mov_b32 s27, s26
	s_mov_b32 s34, s1
	s_branch .LBB29_31
.LBB29_30:                              ;   in Loop: Header=BB29_31 Depth=3
	s_wait_alu 0xfffe
	s_or_b32 exec_lo, exec_lo, s35
	v_add_nc_u32_e32 v7, s31, v7
	s_add_co_i32 s34, s34, 1
	s_add_co_i32 s27, s27, 16
	s_wait_alu 0xfffe
	s_cmp_eq_u32 s14, s34
	s_wait_loadcnt 0x0
	; wave barrier
	global_inv scope:SCOPE_SE
	s_cbranch_scc1 .LBB29_25
.LBB29_31:                              ;   Parent Loop BB29_4 Depth=1
                                        ;     Parent Loop BB29_26 Depth=2
                                        ; =>    This Inner Loop Header: Depth=3
	s_mov_b32 s35, exec_lo
	s_wait_alu 0xfffe
	v_cmpx_eq_u32_e64 s34, v0
	s_cbranch_execz .LBB29_33
; %bb.32:                               ;   in Loop: Header=BB29_31 Depth=3
	ds_load_b128 v[22:25], v13
	v_add_f64_e64 v[26:27], -v[1:2], 0
	s_wait_dscnt 0x0
	v_mul_f64_e32 v[28:29], v[3:4], v[24:25]
	v_mul_f64_e32 v[30:31], v[3:4], v[22:23]
	s_delay_alu instid0(VALU_DEP_2) | instskip(NEXT) | instid1(VALU_DEP_2)
	v_fma_f64 v[22:23], v[26:27], v[22:23], v[28:29]
	v_fma_f64 v[24:25], v[26:27], v[24:25], -v[30:31]
	ds_store_b128 v6, v[22:25]
.LBB29_33:                              ;   in Loop: Header=BB29_31 Depth=3
	s_or_b32 exec_lo, exec_lo, s35
	s_delay_alu instid0(SALU_CYCLE_1)
	s_mov_b32 s35, exec_lo
	; wave barrier
	s_wait_loadcnt_dscnt 0x0
	global_inv scope:SCOPE_SE
	v_cmpx_lt_u32_e64 s34, v0
	s_cbranch_execz .LBB29_30
; %bb.34:                               ;   in Loop: Header=BB29_31 Depth=3
	v_mov_b32_e32 v8, s27
	ds_load_b128 v[22:25], v7
	ds_load_b128 v[26:29], v8
	s_wait_dscnt 0x0
	v_mul_f64_e32 v[30:31], v[28:29], v[24:25]
	v_mul_f64_e32 v[24:25], v[26:27], v[24:25]
	s_delay_alu instid0(VALU_DEP_2) | instskip(NEXT) | instid1(VALU_DEP_2)
	v_fma_f64 v[26:27], v[26:27], v[22:23], -v[30:31]
	v_fma_f64 v[22:23], v[28:29], v[22:23], v[24:25]
	s_delay_alu instid0(VALU_DEP_2) | instskip(NEXT) | instid1(VALU_DEP_2)
	v_add_f64_e32 v[1:2], v[1:2], v[26:27]
	v_add_f64_e32 v[3:4], v[3:4], v[22:23]
	s_branch .LBB29_30
.LBB29_35:                              ;   in Loop: Header=BB29_4 Depth=1
	s_and_saveexec_b32 s26, s0
	s_cbranch_execz .LBB29_2
; %bb.36:                               ;   in Loop: Header=BB29_4 Depth=1
	s_and_not1_b32 vcc_lo, exec_lo, s29
	s_mov_b32 s1, -1
	s_wait_alu 0xfffe
	s_cbranch_vccnz .LBB29_40
; %bb.37:                               ;   in Loop: Header=BB29_4 Depth=1
	v_add_co_u32 v1, vcc_lo, v9, v19
	s_wait_alu 0xfffd
	v_add_co_ci_u32_e64 v2, null, v10, v20, vcc_lo
	v_mov_b32_e32 v3, v14
	s_mov_b32 s27, 0
	s_mov_b32 s34, s14
.LBB29_38:                              ;   Parent Loop BB29_4 Depth=1
                                        ; =>  This Inner Loop Header: Depth=2
	ds_load_2addr_b64 v[4:7], v3 offset1:1
	s_wait_alu 0xfffe
	s_add_co_i32 s34, s34, -1
	v_add_nc_u32_e32 v3, s31, v3
	s_wait_alu 0xfffe
	v_cmp_le_u32_e32 vcc_lo, s34, v0
	s_or_b32 s27, vcc_lo, s27
	s_wait_dscnt 0x0
	flat_store_b128 v[1:2], v[4:7]
	v_add_co_u32 v1, s1, v1, s24
	s_wait_alu 0xf1ff
	v_add_co_ci_u32_e64 v2, null, s25, v2, s1
	s_wait_alu 0xfffe
	s_and_not1_b32 exec_lo, exec_lo, s27
	s_cbranch_execnz .LBB29_38
; %bb.39:                               ;   in Loop: Header=BB29_4 Depth=1
	s_or_b32 exec_lo, exec_lo, s27
	s_mov_b32 s1, 0
.LBB29_40:                              ;   in Loop: Header=BB29_4 Depth=1
	s_wait_alu 0xfffe
	s_and_b32 vcc_lo, exec_lo, s1
	s_wait_alu 0xfffe
	s_cbranch_vccz .LBB29_2
; %bb.41:                               ;   in Loop: Header=BB29_4 Depth=1
	v_add_co_u32 v1, vcc_lo, v9, s16
	s_wait_alu 0xfffd
	v_add_co_ci_u32_e64 v2, null, s17, v10, vcc_lo
	v_dual_mov_b32 v3, v12 :: v_dual_mov_b32 v4, v17
	s_delay_alu instid0(VALU_DEP_3) | instskip(SKIP_1) | instid1(VALU_DEP_3)
	v_add_co_u32 v1, vcc_lo, v1, s20
	s_wait_alu 0xfffd
	v_add_co_ci_u32_e64 v2, null, s21, v2, vcc_lo
	s_mov_b32 s27, 0
	v_add_co_u32 v1, vcc_lo, v1, v21
	s_wait_alu 0xfffd
	v_add_co_ci_u32_e64 v2, null, 0, v2, vcc_lo
.LBB29_42:                              ;   Parent Loop BB29_4 Depth=1
                                        ; =>  This Inner Loop Header: Depth=2
	ds_load_2addr_b64 v[5:8], v3 offset1:1
	v_add_nc_u32_e32 v4, -1, v4
	v_add_nc_u32_e32 v3, s31, v3
	s_delay_alu instid0(VALU_DEP_2)
	v_cmp_eq_u32_e32 vcc_lo, 0, v4
	s_wait_alu 0xfffe
	s_or_b32 s27, vcc_lo, s27
	s_wait_dscnt 0x0
	flat_store_b128 v[1:2], v[5:8]
	v_add_co_u32 v1, s1, v1, s22
	s_wait_alu 0xf1ff
	v_add_co_ci_u32_e64 v2, null, s23, v2, s1
	s_wait_alu 0xfffe
	s_and_not1_b32 exec_lo, exec_lo, s27
	s_cbranch_execnz .LBB29_42
	s_branch .LBB29_2
.LBB29_43:
	s_endpgm
	.section	.rodata,"a",@progbits
	.p2align	6, 0x0
	.amdhsa_kernel _ZL26rocblas_trtri_small_kernelILi16E19rocblas_complex_numIdEPKPKS1_PKPS1_Ev13rocblas_fill_17rocblas_diagonal_iT1_lillT2_lilli
		.amdhsa_group_segment_fixed_size 4096
		.amdhsa_private_segment_fixed_size 0
		.amdhsa_kernarg_size 100
		.amdhsa_user_sgpr_count 2
		.amdhsa_user_sgpr_dispatch_ptr 0
		.amdhsa_user_sgpr_queue_ptr 0
		.amdhsa_user_sgpr_kernarg_segment_ptr 1
		.amdhsa_user_sgpr_dispatch_id 0
		.amdhsa_user_sgpr_private_segment_size 0
		.amdhsa_wavefront_size32 1
		.amdhsa_uses_dynamic_stack 0
		.amdhsa_enable_private_segment 0
		.amdhsa_system_sgpr_workgroup_id_x 1
		.amdhsa_system_sgpr_workgroup_id_y 0
		.amdhsa_system_sgpr_workgroup_id_z 1
		.amdhsa_system_sgpr_workgroup_info 0
		.amdhsa_system_vgpr_workitem_id 0
		.amdhsa_next_free_vgpr 169
		.amdhsa_next_free_sgpr 37
		.amdhsa_reserve_vcc 1
		.amdhsa_float_round_mode_32 0
		.amdhsa_float_round_mode_16_64 0
		.amdhsa_float_denorm_mode_32 3
		.amdhsa_float_denorm_mode_16_64 3
		.amdhsa_fp16_overflow 0
		.amdhsa_workgroup_processor_mode 1
		.amdhsa_memory_ordered 1
		.amdhsa_forward_progress 1
		.amdhsa_inst_pref_size 18
		.amdhsa_round_robin_scheduling 0
		.amdhsa_exception_fp_ieee_invalid_op 0
		.amdhsa_exception_fp_denorm_src 0
		.amdhsa_exception_fp_ieee_div_zero 0
		.amdhsa_exception_fp_ieee_overflow 0
		.amdhsa_exception_fp_ieee_underflow 0
		.amdhsa_exception_fp_ieee_inexact 0
		.amdhsa_exception_int_div_zero 0
	.end_amdhsa_kernel
	.section	.text._ZL26rocblas_trtri_small_kernelILi16E19rocblas_complex_numIdEPKPKS1_PKPS1_Ev13rocblas_fill_17rocblas_diagonal_iT1_lillT2_lilli,"axG",@progbits,_ZL26rocblas_trtri_small_kernelILi16E19rocblas_complex_numIdEPKPKS1_PKPS1_Ev13rocblas_fill_17rocblas_diagonal_iT1_lillT2_lilli,comdat
.Lfunc_end29:
	.size	_ZL26rocblas_trtri_small_kernelILi16E19rocblas_complex_numIdEPKPKS1_PKPS1_Ev13rocblas_fill_17rocblas_diagonal_iT1_lillT2_lilli, .Lfunc_end29-_ZL26rocblas_trtri_small_kernelILi16E19rocblas_complex_numIdEPKPKS1_PKPS1_Ev13rocblas_fill_17rocblas_diagonal_iT1_lillT2_lilli
                                        ; -- End function
	.set _ZL26rocblas_trtri_small_kernelILi16E19rocblas_complex_numIdEPKPKS1_PKPS1_Ev13rocblas_fill_17rocblas_diagonal_iT1_lillT2_lilli.num_vgpr, 32
	.set _ZL26rocblas_trtri_small_kernelILi16E19rocblas_complex_numIdEPKPKS1_PKPS1_Ev13rocblas_fill_17rocblas_diagonal_iT1_lillT2_lilli.num_agpr, 0
	.set _ZL26rocblas_trtri_small_kernelILi16E19rocblas_complex_numIdEPKPKS1_PKPS1_Ev13rocblas_fill_17rocblas_diagonal_iT1_lillT2_lilli.numbered_sgpr, 37
	.set _ZL26rocblas_trtri_small_kernelILi16E19rocblas_complex_numIdEPKPKS1_PKPS1_Ev13rocblas_fill_17rocblas_diagonal_iT1_lillT2_lilli.num_named_barrier, 0
	.set _ZL26rocblas_trtri_small_kernelILi16E19rocblas_complex_numIdEPKPKS1_PKPS1_Ev13rocblas_fill_17rocblas_diagonal_iT1_lillT2_lilli.private_seg_size, 0
	.set _ZL26rocblas_trtri_small_kernelILi16E19rocblas_complex_numIdEPKPKS1_PKPS1_Ev13rocblas_fill_17rocblas_diagonal_iT1_lillT2_lilli.uses_vcc, 1
	.set _ZL26rocblas_trtri_small_kernelILi16E19rocblas_complex_numIdEPKPKS1_PKPS1_Ev13rocblas_fill_17rocblas_diagonal_iT1_lillT2_lilli.uses_flat_scratch, 0
	.set _ZL26rocblas_trtri_small_kernelILi16E19rocblas_complex_numIdEPKPKS1_PKPS1_Ev13rocblas_fill_17rocblas_diagonal_iT1_lillT2_lilli.has_dyn_sized_stack, 0
	.set _ZL26rocblas_trtri_small_kernelILi16E19rocblas_complex_numIdEPKPKS1_PKPS1_Ev13rocblas_fill_17rocblas_diagonal_iT1_lillT2_lilli.has_recursion, 0
	.set _ZL26rocblas_trtri_small_kernelILi16E19rocblas_complex_numIdEPKPKS1_PKPS1_Ev13rocblas_fill_17rocblas_diagonal_iT1_lillT2_lilli.has_indirect_call, 0
	.section	.AMDGPU.csdata,"",@progbits
; Kernel info:
; codeLenInByte = 2204
; TotalNumSgprs: 39
; NumVgprs: 32
; ScratchSize: 0
; MemoryBound: 0
; FloatMode: 240
; IeeeMode: 1
; LDSByteSize: 4096 bytes/workgroup (compile time only)
; SGPRBlocks: 0
; VGPRBlocks: 21
; NumSGPRsForWavesPerEU: 39
; NumVGPRsForWavesPerEU: 169
; Occupancy: 8
; WaveLimiterHint : 0
; COMPUTE_PGM_RSRC2:SCRATCH_EN: 0
; COMPUTE_PGM_RSRC2:USER_SGPR: 2
; COMPUTE_PGM_RSRC2:TRAP_HANDLER: 0
; COMPUTE_PGM_RSRC2:TGID_X_EN: 1
; COMPUTE_PGM_RSRC2:TGID_Y_EN: 0
; COMPUTE_PGM_RSRC2:TGID_Z_EN: 1
; COMPUTE_PGM_RSRC2:TIDIG_COMP_CNT: 0
	.section	.text._ZL29rocblas_trtri_diagonal_kernelILi16E19rocblas_complex_numIdEPKPKS1_PKPS1_Ev13rocblas_fill_17rocblas_diagonal_iT1_lillT2_lilli,"axG",@progbits,_ZL29rocblas_trtri_diagonal_kernelILi16E19rocblas_complex_numIdEPKPKS1_PKPS1_Ev13rocblas_fill_17rocblas_diagonal_iT1_lillT2_lilli,comdat
	.globl	_ZL29rocblas_trtri_diagonal_kernelILi16E19rocblas_complex_numIdEPKPKS1_PKPS1_Ev13rocblas_fill_17rocblas_diagonal_iT1_lillT2_lilli ; -- Begin function _ZL29rocblas_trtri_diagonal_kernelILi16E19rocblas_complex_numIdEPKPKS1_PKPS1_Ev13rocblas_fill_17rocblas_diagonal_iT1_lillT2_lilli
	.p2align	8
	.type	_ZL29rocblas_trtri_diagonal_kernelILi16E19rocblas_complex_numIdEPKPKS1_PKPS1_Ev13rocblas_fill_17rocblas_diagonal_iT1_lillT2_lilli,@function
_ZL29rocblas_trtri_diagonal_kernelILi16E19rocblas_complex_numIdEPKPKS1_PKPS1_Ev13rocblas_fill_17rocblas_diagonal_iT1_lillT2_lilli: ; @_ZL29rocblas_trtri_diagonal_kernelILi16E19rocblas_complex_numIdEPKPKS1_PKPS1_Ev13rocblas_fill_17rocblas_diagonal_iT1_lillT2_lilli
; %bb.0:
	s_load_b32 s33, s[0:1], 0x60
	s_lshr_b32 s20, ttmp7, 16
	s_wait_kmcnt 0x0
	s_cmp_ge_u32 s20, s33
	s_cbranch_scc1 .LBB30_90
; %bb.1:
	s_clause 0x5
	s_load_b96 s[4:6], s[0:1], 0x0
	s_load_b128 s[8:11], s[0:1], 0x10
	s_load_b32 s30, s[0:1], 0x20
	s_load_b96 s[16:18], s[0:1], 0x40
	s_load_b128 s[12:15], s[0:1], 0x30
	s_load_b64 s[0:1], s[0:1], 0x58
	s_mov_b32 s21, 0
	v_cvt_f32_ubyte0_e32 v5, v0
	s_mov_b32 s27, s21
	s_mov_b32 s23, s21
	;; [unrolled: 1-line block ×3, first 2 shown]
	v_lshlrev_b32_e32 v7, 4, v0
	s_wait_kmcnt 0x0
	s_ashr_i32 s2, s6, 31
	s_ashr_i32 s31, s30, 31
	s_lshr_b32 s2, s2, 27
	s_ashr_i32 s39, s18, 31
	s_add_co_i32 s2, s6, s2
	s_lshl_b64 s[28:29], s[30:31], 5
	s_ashr_i32 s2, s2, 5
	s_mov_b32 s38, s18
	s_cvt_f32_u32 s3, s2
	s_add_nc_u64 s[28:29], s[28:29], 32
	s_delay_alu instid0(SALU_CYCLE_2) | instskip(NEXT) | instid1(TRANS32_DEP_1)
	v_rcp_iflag_f32_e32 v1, s3
	v_readfirstlane_b32 s3, v1
	s_mul_f32 s7, s3, 0x4f7ffffe
	s_mov_b32 s3, s21
	s_delay_alu instid0(SALU_CYCLE_2) | instskip(SKIP_1) | instid1(SALU_CYCLE_2)
	s_cvt_u32_f32 s19, s7
	s_sub_co_i32 s7, 0, s2
	s_mul_i32 s7, s7, s19
	s_delay_alu instid0(SALU_CYCLE_1) | instskip(SKIP_2) | instid1(SALU_CYCLE_1)
	s_mul_hi_u32 s22, s19, s7
	s_mov_b32 s7, s21
	s_add_co_i32 s19, s19, s22
	s_mul_hi_u32 s19, ttmp9, s19
	s_delay_alu instid0(SALU_CYCLE_1) | instskip(SKIP_2) | instid1(SALU_CYCLE_1)
	s_mul_i32 s22, s19, s2
	s_add_co_i32 s24, s19, 1
	s_sub_co_i32 s22, ttmp9, s22
	s_sub_co_i32 s26, s22, s2
	s_cmp_ge_u32 s22, s2
	s_cselect_b32 s19, s24, s19
	s_cselect_b32 s22, s26, s22
	s_add_co_i32 s24, s19, 1
	s_cmp_ge_u32 s22, s2
	s_cselect_b32 s26, s24, s19
	s_lshl_b64 s[34:35], s[38:39], 5
	s_mul_i32 s2, s26, s2
	s_mul_u64 s[40:41], s[12:13], s[26:27]
	s_wait_alu 0xfffe
	s_sub_co_i32 s2, ttmp9, s2
	s_add_nc_u64 s[12:13], s[34:35], 32
	s_mul_u64 s[34:35], s[0:1], s[26:27]
	s_wait_alu 0xfffe
	s_lshl_b32 s0, s2, 4
	s_mul_u64 s[28:29], s[28:29], s[2:3]
	s_sub_co_i32 s1, s6, s0
	s_mul_u64 s[36:37], s[12:13], s[2:3]
	s_min_u32 s22, s1, 16
	s_cmp_lg_u32 s6, s0
	v_cvt_f32_ubyte0_e32 v6, s22
	s_cselect_b32 s42, -1, 0
	s_lshl_b32 s19, s22, 1
	v_mov_b32_e32 v1, s22
	v_cmp_gt_u32_e64 s2, s19, v0
	v_rcp_iflag_f32_e32 v8, v6
	v_mov_b32_e32 v9, 0
	s_cmp_lg_u32 s4, 0x7a
	v_cmp_gt_u32_e32 vcc_lo, s22, v0
	s_wait_alu 0xf1ff
	v_cndmask_b32_e64 v2, 0, 0x3000, s2
	s_mul_u64 s[26:27], s[22:23], s[30:31]
	s_cselect_b32 s43, -1, 0
	s_cmp_lg_u32 s5, 0x84
	s_add_nc_u64 s[4:5], s[26:27], s[22:23]
	s_cselect_b32 s44, -1, 0
	v_mul_f32_e32 v8, v5, v8
	s_add_co_i32 s6, s22, -1
	v_cndmask_b32_e64 v10, s19, v1, s2
	s_mul_u64 s[12:13], s[22:23], s[38:39]
	s_lshl_b32 s24, s22, 4
	v_trunc_f32_e32 v8, v8
	v_cndmask_b32_e64 v18, v2, 0x2000, vcc_lo
	v_cndmask_b32_e64 v2, s5, 0, vcc_lo
	;; [unrolled: 1-line block ×3, first 2 shown]
	s_lshl_b64 s[4:5], s[6:7], 4
	v_fma_f32 v5, -v8, v6, v5
	s_add_nc_u64 s[46:47], s[12:13], s[22:23]
	s_lshl_b64 s[26:27], s[40:41], 4
	s_lshl_b64 s[28:29], s[28:29], 4
	s_wait_alu 0xfffe
	s_add_nc_u64 s[4:5], s[24:25], s[4:5]
	v_cndmask_b32_e64 v4, s47, 0, vcc_lo
	v_cndmask_b32_e64 v3, s46, 0, vcc_lo
	s_add_nc_u64 s[40:41], s[26:27], s[28:29]
	s_wait_alu 0xfffe
	s_mul_u64 s[4:5], s[4:5], s[30:31]
	v_cndmask_b32_e64 v12, v10, 0, vcc_lo
	v_cvt_u32_f32_e32 v10, v8
	v_cmp_ge_f32_e64 vcc_lo, |v5|, v6
	s_lshl_b64 s[10:11], s[10:11], 4
	s_wait_alu 0xfffe
	s_add_nc_u64 s[4:5], s[40:41], s[4:5]
	v_cmp_le_u32_e64 s3, s19, v0
	s_wait_alu 0xfffe
	s_add_nc_u64 s[4:5], s[4:5], s[10:11]
	s_mul_i32 s19, s22, s6
	s_mul_u64 s[6:7], s[30:31], s[6:7]
	s_wait_alu 0xfffd
	v_add_co_ci_u32_e64 v10, null, 0, v10, vcc_lo
	v_lshlrev_b32_e32 v14, 4, v12
	s_wait_alu 0xfffe
	v_add_co_u32 v6, s4, s4, v7
	s_lshl_b64 s[6:7], s[6:7], 4
	v_lshlrev_b64_e32 v[1:2], 4, v[1:2]
	s_wait_alu 0xf1ff
	v_add_co_ci_u32_e64 v13, null, s5, 0, s4
	s_add_nc_u64 s[6:7], s[40:41], s[6:7]
	v_mul_lo_u16 v15, v10, s22
	s_add_nc_u64 s[48:49], s[10:11], s[6:7]
	v_sub_co_u32 v20, vcc_lo, v6, v14
	s_mul_i32 s0, s22, 3
	s_mul_i32 s1, s22, s22
	s_wait_alu 0xfffd
	v_subrev_co_ci_u32_e64 v21, null, 0, v13, vcc_lo
	v_add_co_u32 v13, vcc_lo, s48, v1
	v_cmp_gt_u32_e64 s0, s0, v0
	v_cmp_gt_u32_e64 s1, s1, v0
	v_sub_nc_u32_e32 v8, v0, v12
	v_sub_nc_u16 v0, v0, v15
	s_wait_alu 0xfffd
	v_add_co_ci_u32_e64 v15, null, s49, v2, vcc_lo
	v_add_co_u32 v13, vcc_lo, v13, v7
	s_add_nc_u64 s[40:41], s[10:11], s[40:41]
	s_wait_alu 0xfffd
	v_add_co_ci_u32_e64 v15, null, 0, v15, vcc_lo
	v_sub_co_u32 v13, vcc_lo, v13, v14
	v_and_b32_e32 v23, 0xffff, v0
	s_wait_alu 0xfffd
	s_delay_alu instid0(VALU_DEP_3) | instskip(NEXT) | instid1(VALU_DEP_3)
	v_subrev_co_ci_u32_e64 v15, null, 0, v15, vcc_lo
	v_add_co_u32 v29, vcc_lo, v13, 8
	s_delay_alu instid0(VALU_DEP_3) | instskip(SKIP_1) | instid1(VALU_DEP_3)
	v_lshlrev_b32_e32 v27, 4, v23
	s_wait_alu 0xfffd
	v_add_co_ci_u32_e64 v30, null, 0, v15, vcc_lo
	v_add_co_u32 v1, vcc_lo, s40, v1
	s_wait_alu 0xfffd
	v_add_co_ci_u32_e64 v2, null, s41, v2, vcc_lo
	v_add_lshl_u32 v12, v12, s22, 4
	s_delay_alu instid0(VALU_DEP_3) | instskip(SKIP_1) | instid1(VALU_DEP_3)
	v_add_co_u32 v1, vcc_lo, v1, v7
	s_wait_alu 0xfffd
	v_add_co_ci_u32_e64 v2, null, 0, v2, vcc_lo
	v_add_nc_u32_e32 v13, s24, v7
	s_delay_alu instid0(VALU_DEP_3)
	v_sub_co_u32 v1, vcc_lo, v1, v14
	s_add_nc_u64 s[40:41], s[22:23], -1
	v_sub_nc_u32_e32 v12, v12, v7
	v_sub_nc_u32_e32 v13, v13, v14
	v_or_b32_e32 v33, 8, v1
	v_sub_nc_u32_e32 v1, s24, v27
	v_and_b32_e32 v22, 0xffff, v10
	s_wait_alu 0xfffe
	s_mul_u64 s[40:41], s[40:41], s[38:39]
	s_lshl_b64 s[34:35], s[34:35], 4
	s_wait_alu 0xfffe
	s_lshl_b64 s[40:41], s[40:41], 4
	v_mul_lo_u32 v1, s22, v1
	v_add3_u32 v31, v12, v18, -16
	v_add_nc_u32_e32 v34, v18, v13
	s_wait_alu 0xfffe
	s_add_nc_u64 s[40:41], s[40:41], s[34:35]
	s_lshl_b64 s[36:37], s[36:37], 4
	v_lshlrev_b64_e32 v[12:13], 4, v[3:4]
	v_mul_u32_u24_e32 v0, s22, v22
	s_wait_alu 0xfffe
	s_add_nc_u64 s[40:41], s[40:41], s[36:37]
	v_sub_nc_u32_e32 v1, v1, v27
	s_lshl_b64 s[16:17], s[16:17], 4
	v_lshl_add_u32 v11, s19, 4, v7
	s_wait_alu 0xfffe
	s_add_nc_u64 s[40:41], s[16:17], s[40:41]
	s_add_co_i32 s45, s22, 1
	s_wait_alu 0xfffd
	v_subrev_co_ci_u32_e64 v32, null, 0, v2, vcc_lo
	v_lshlrev_b32_e32 v0, 4, v0
	v_add_nc_u32_e32 v42, 0x1ff0, v1
	s_wait_alu 0xfffe
	v_add_co_u32 v1, vcc_lo, s40, v12
	v_add_nc_u32_e32 v5, s22, v8
	v_mul_i32_i24_e32 v16, s45, v8
	s_wait_alu 0xfffd
	v_add_co_ci_u32_e64 v2, null, s41, v13, vcc_lo
	v_sub_nc_u32_e32 v11, v11, v14
	v_add3_u32 v41, v0, v27, 0x1000
	v_add_nc_u32_e32 v43, 0x1000, v0
	v_add_co_u32 v0, vcc_lo, v1, v7
	v_ashrrev_i32_e32 v6, 31, v5
	v_lshl_add_u32 v24, v16, 4, v18
	v_lshlrev_b32_e32 v26, 8, v22
	v_add_nc_u32_e32 v16, s22, v23
	s_wait_alu 0xfffd
	v_add_co_ci_u32_e64 v1, null, 0, v2, vcc_lo
	v_add_nc_u32_e32 v25, v18, v11
	v_cmp_gt_u16_e64 s6, 16, v10
	v_mad_co_i64_i32 v[10:11], null, v22, s18, 0
	s_movk_i32 s7, 0x110
	v_sub_co_u32 v45, vcc_lo, v0, v14
	v_lshlrev_b64_e32 v[14:15], 4, v[5:6]
	v_lshl_add_u32 v19, v8, 4, v18
	v_cmp_gt_i32_e64 s4, s22, v8
	v_cmp_lt_i32_e64 s5, -1, v8
	v_add_nc_u32_e32 v28, 0x1000, v27
	v_or_b32_e32 v35, 16, v18
	v_sub_nc_u32_e32 v36, 0x3ff0, v26
	v_add_nc_u32_e32 v37, -1, v22
	v_mad_u32_u24 v38, v22, s7, 0x2000
	v_add_nc_u32_e32 v39, v26, v27
	v_add_nc_u32_e32 v40, -1, v23
	v_add_nc_u32_e32 v44, 0x3000, v27
	s_wait_alu 0xfffd
	v_subrev_co_ci_u32_e64 v46, null, 0, v1, vcc_lo
	v_add_nc_u32_e32 v47, 1, v8
	v_lshlrev_b32_e32 v48, 4, v23
	v_lshlrev_b32_e32 v49, 4, v16
	s_lshl_b64 s[18:19], s[30:31], 4
	s_lshl_b64 s[38:39], s[38:39], 4
	s_sub_co_i32 s46, 0, s24
	s_wait_alu 0xfffe
	s_sub_nc_u64 s[30:31], 0, s[18:19]
	s_add_co_i32 s23, s24, 16
	s_sub_nc_u64 s[40:41], 0, s[38:39]
	s_branch .LBB30_4
.LBB30_2:                               ;   in Loop: Header=BB30_4 Depth=1
	s_wait_alu 0xfffe
	s_or_b32 exec_lo, exec_lo, s25
.LBB30_3:                               ;   in Loop: Header=BB30_4 Depth=1
	s_add_co_i32 s20, s20, 0x10000
	s_delay_alu instid0(SALU_CYCLE_1)
	s_cmp_lt_u32 s20, s33
	s_cbranch_scc0 .LBB30_90
.LBB30_4:                               ; =>This Loop Header: Depth=1
                                        ;     Child Loop BB30_9 Depth 2
                                        ;     Child Loop BB30_13 Depth 2
	;; [unrolled: 1-line block ×5, first 2 shown]
                                        ;       Child Loop BB30_46 Depth 3
                                        ;     Child Loop BB30_53 Depth 2
                                        ;     Child Loop BB30_60 Depth 2
	;; [unrolled: 1-line block ×6, first 2 shown]
	s_and_not1_b32 vcc_lo, exec_lo, s42
	s_wait_alu 0xfffe
	s_cbranch_vccnz .LBB30_3
; %bb.5:                                ;   in Loop: Header=BB30_4 Depth=1
	s_lshl_b64 s[48:49], s[20:21], 3
	s_wait_alu 0xfffe
	s_add_nc_u64 s[50:51], s[8:9], s[48:49]
	s_add_nc_u64 s[48:49], s[14:15], s[48:49]
	s_clause 0x1
	global_load_b64 v[4:5], v9, s[50:51]
	global_load_b64 v[16:17], v9, s[48:49]
	s_and_saveexec_b32 s7, s3
	s_wait_alu 0xfffe
	s_xor_b32 s7, exec_lo, s7
	s_cbranch_execz .LBB30_15
; %bb.6:                                ;   in Loop: Header=BB30_4 Depth=1
	s_and_saveexec_b32 s25, s0
	s_cbranch_execz .LBB30_14
; %bb.7:                                ;   in Loop: Header=BB30_4 Depth=1
	s_and_not1_b32 vcc_lo, exec_lo, s43
	s_mov_b32 s47, -1
	s_wait_alu 0xfffe
	s_cbranch_vccnz .LBB30_11
; %bb.8:                                ;   in Loop: Header=BB30_4 Depth=1
	s_wait_loadcnt 0x1
	v_add_co_u32 v0, vcc_lo, v4, v20
	s_wait_alu 0xfffd
	v_add_co_ci_u32_e64 v1, null, v5, v21, vcc_lo
	v_mov_b32_e32 v2, v25
	s_mov_b32 s47, s45
.LBB30_9:                               ;   Parent Loop BB30_4 Depth=1
                                        ; =>  This Inner Loop Header: Depth=2
	flat_load_b128 v[50:53], v[0:1]
	v_add_co_u32 v0, vcc_lo, v0, s30
	s_wait_alu 0xfffd
	v_add_co_ci_u32_e64 v1, null, s31, v1, vcc_lo
	s_wait_alu 0xfffe
	s_add_co_i32 s47, s47, -1
	s_wait_alu 0xfffe
	s_cmp_gt_u32 s47, 1
	s_wait_loadcnt_dscnt 0x0
	ds_store_2addr_b64 v2, v[50:51], v[52:53] offset1:1
	v_add_nc_u32_e32 v2, s46, v2
	s_cbranch_scc1 .LBB30_9
; %bb.10:                               ;   in Loop: Header=BB30_4 Depth=1
	s_mov_b32 s47, 0
.LBB30_11:                              ;   in Loop: Header=BB30_4 Depth=1
	s_wait_alu 0xfffe
	s_and_b32 vcc_lo, exec_lo, s47
	s_wait_alu 0xfffe
	s_cbranch_vccz .LBB30_14
; %bb.12:                               ;   in Loop: Header=BB30_4 Depth=1
	s_wait_loadcnt 0x1
	v_add_co_u32 v0, vcc_lo, v4, s10
	s_wait_alu 0xfffd
	v_add_co_ci_u32_e64 v1, null, s11, v5, vcc_lo
	v_mov_b32_e32 v2, v19
	s_delay_alu instid0(VALU_DEP_3) | instskip(SKIP_1) | instid1(VALU_DEP_3)
	v_add_co_u32 v0, vcc_lo, v0, s28
	s_wait_alu 0xfffd
	v_add_co_ci_u32_e64 v1, null, s29, v1, vcc_lo
	s_mov_b32 s47, s22
	v_add_co_u32 v0, vcc_lo, v0, s26
	s_wait_alu 0xfffd
	v_add_co_ci_u32_e64 v1, null, s27, v1, vcc_lo
	s_delay_alu instid0(VALU_DEP_2) | instskip(SKIP_1) | instid1(VALU_DEP_2)
	v_add_co_u32 v0, vcc_lo, v0, v14
	s_wait_alu 0xfffd
	v_add_co_ci_u32_e64 v1, null, v1, v15, vcc_lo
.LBB30_13:                              ;   Parent Loop BB30_4 Depth=1
                                        ; =>  This Inner Loop Header: Depth=2
	flat_load_b128 v[3:6], v[0:1]
	v_add_co_u32 v0, vcc_lo, v0, s18
	s_wait_alu 0xfffd
	v_add_co_ci_u32_e64 v1, null, s19, v1, vcc_lo
	s_wait_alu 0xfffe
	s_add_co_i32 s47, s47, -1
	s_wait_alu 0xfffe
	s_cmp_eq_u32 s47, 0
	s_wait_loadcnt_dscnt 0x0
	ds_store_2addr_b64 v2, v[3:4], v[5:6] offset1:1
	v_add_nc_u32_e32 v2, s24, v2
	s_cbranch_scc0 .LBB30_13
.LBB30_14:                              ;   in Loop: Header=BB30_4 Depth=1
	s_wait_alu 0xfffe
	s_or_b32 exec_lo, exec_lo, s25
                                        ; implicit-def: $vgpr4_vgpr5
.LBB30_15:                              ;   in Loop: Header=BB30_4 Depth=1
	s_wait_alu 0xfffe
	s_and_not1_saveexec_b32 s7, s7
	s_cbranch_execz .LBB30_27
; %bb.16:                               ;   in Loop: Header=BB30_4 Depth=1
	s_and_b32 vcc_lo, exec_lo, s43
	s_mov_b32 s25, -1
	s_wait_alu 0xfffe
	s_cbranch_vccz .LBB30_22
; %bb.17:                               ;   in Loop: Header=BB30_4 Depth=1
	s_wait_loadcnt 0x1
	v_add_co_u32 v6, vcc_lo, v4, v29
	s_wait_alu 0xfffd
	v_add_co_ci_u32_e64 v7, null, v5, v30, vcc_lo
	v_mov_b32_e32 v50, v31
	s_mov_b32 s25, s22
	s_branch .LBB30_19
.LBB30_18:                              ;   in Loop: Header=BB30_19 Depth=2
	s_or_b32 exec_lo, exec_lo, s47
	v_add_co_u32 v6, vcc_lo, v6, s30
	s_wait_loadcnt_dscnt 0x0
	ds_store_b128 v50, v[0:3]
	s_wait_alu 0xfffd
	v_add_co_ci_u32_e64 v7, null, s31, v7, vcc_lo
	v_add_nc_u32_e32 v50, s24, v50
	s_cmp_lt_i32 s25, 1
	s_cbranch_scc1 .LBB30_21
.LBB30_19:                              ;   Parent Loop BB30_4 Depth=1
                                        ; =>  This Inner Loop Header: Depth=2
	v_mov_b32_e32 v0, 0
	v_dual_mov_b32 v1, 0 :: v_dual_mov_b32 v2, 0
	v_mov_b32_e32 v3, 0
	s_wait_alu 0xfffe
	s_add_co_i32 s25, s25, -1
	s_mov_b32 s47, exec_lo
	s_wait_alu 0xfffe
	v_cmpx_ge_i32_e64 s25, v8
	s_cbranch_execz .LBB30_18
; %bb.20:                               ;   in Loop: Header=BB30_19 Depth=2
	flat_load_b128 v[0:3], v[6:7] offset:-8
	s_branch .LBB30_18
.LBB30_21:                              ;   in Loop: Header=BB30_4 Depth=1
	s_mov_b32 s25, 0
.LBB30_22:                              ;   in Loop: Header=BB30_4 Depth=1
	s_wait_alu 0xfffe
	s_and_b32 vcc_lo, exec_lo, s25
	s_wait_alu 0xfffe
	s_cbranch_vccz .LBB30_27
; %bb.23:                               ;   in Loop: Header=BB30_4 Depth=1
	s_wait_loadcnt 0x1
	v_add_co_u32 v4, vcc_lo, v4, v33
	s_wait_alu 0xfffd
	v_add_co_ci_u32_e64 v5, null, v5, v32, vcc_lo
	v_mov_b32_e32 v6, v19
	s_mov_b32 s25, 0
	s_branch .LBB30_25
.LBB30_24:                              ;   in Loop: Header=BB30_25 Depth=2
	s_or_b32 exec_lo, exec_lo, s47
	v_add_co_u32 v4, vcc_lo, v4, s18
	s_wait_loadcnt_dscnt 0x0
	ds_store_b128 v6, v[0:3]
	s_wait_alu 0xfffd
	v_add_co_ci_u32_e64 v5, null, s19, v5, vcc_lo
	v_add_nc_u32_e32 v6, s24, v6
	s_add_co_i32 s25, s25, 1
	s_wait_alu 0xfffe
	s_cmp_eq_u32 s22, s25
	s_cbranch_scc1 .LBB30_27
.LBB30_25:                              ;   Parent Loop BB30_4 Depth=1
                                        ; =>  This Inner Loop Header: Depth=2
	v_mov_b32_e32 v0, 0
	v_dual_mov_b32 v1, 0 :: v_dual_mov_b32 v2, 0
	v_mov_b32_e32 v3, 0
	s_mov_b32 s47, exec_lo
	s_wait_alu 0xfffe
	v_cmpx_le_i32_e64 s25, v8
	s_cbranch_execz .LBB30_24
; %bb.26:                               ;   in Loop: Header=BB30_25 Depth=2
	flat_load_b128 v[0:3], v[4:5] offset:-8
	s_branch .LBB30_24
.LBB30_27:                              ;   in Loop: Header=BB30_4 Depth=1
	s_wait_alu 0xfffe
	s_or_b32 exec_lo, exec_lo, s7
	s_wait_loadcnt_dscnt 0x0
	s_barrier_signal -1
	s_barrier_wait -1
	global_inv scope:SCOPE_SE
	s_and_saveexec_b32 s25, s2
	s_cbranch_execz .LBB30_38
; %bb.28:                               ;   in Loop: Header=BB30_4 Depth=1
	s_and_not1_b32 vcc_lo, exec_lo, s44
	s_wait_alu 0xfffe
	s_cbranch_vccnz .LBB30_36
; %bb.29:                               ;   in Loop: Header=BB30_4 Depth=1
	ds_load_b128 v[0:3], v24
	v_mov_b32_e32 v6, 0
	v_dual_mov_b32 v7, 0 :: v_dual_mov_b32 v4, 0
	v_mov_b32_e32 v5, 0x3ff00000
	s_wait_dscnt 0x0
	v_cmp_neq_f64_e32 vcc_lo, 0, v[0:1]
	v_cmp_neq_f64_e64 s7, 0, v[2:3]
	s_or_b32 s47, vcc_lo, s7
	s_wait_alu 0xfffe
	s_and_saveexec_b32 s7, s47
	s_cbranch_execz .LBB30_35
; %bb.30:                               ;   in Loop: Header=BB30_4 Depth=1
	v_cmp_ngt_f64_e64 s47, |v[0:1]|, |v[2:3]|
                                        ; implicit-def: $vgpr6_vgpr7
	s_and_saveexec_b32 s48, s47
	s_wait_alu 0xfffe
	s_xor_b32 s47, exec_lo, s48
	s_cbranch_execz .LBB30_32
; %bb.31:                               ;   in Loop: Header=BB30_4 Depth=1
	v_div_scale_f64 v[4:5], null, v[2:3], v[2:3], v[0:1]
	v_div_scale_f64 v[52:53], vcc_lo, v[0:1], v[2:3], v[0:1]
	s_delay_alu instid0(VALU_DEP_2) | instskip(NEXT) | instid1(TRANS32_DEP_1)
	v_rcp_f64_e32 v[6:7], v[4:5]
	v_fma_f64 v[50:51], -v[4:5], v[6:7], 1.0
	s_delay_alu instid0(VALU_DEP_1) | instskip(NEXT) | instid1(VALU_DEP_1)
	v_fma_f64 v[6:7], v[6:7], v[50:51], v[6:7]
	v_fma_f64 v[50:51], -v[4:5], v[6:7], 1.0
	s_delay_alu instid0(VALU_DEP_1) | instskip(NEXT) | instid1(VALU_DEP_1)
	v_fma_f64 v[6:7], v[6:7], v[50:51], v[6:7]
	v_mul_f64_e32 v[50:51], v[52:53], v[6:7]
	s_delay_alu instid0(VALU_DEP_1) | instskip(SKIP_1) | instid1(VALU_DEP_1)
	v_fma_f64 v[4:5], -v[4:5], v[50:51], v[52:53]
	s_wait_alu 0xfffd
	v_div_fmas_f64 v[4:5], v[4:5], v[6:7], v[50:51]
	s_delay_alu instid0(VALU_DEP_1) | instskip(NEXT) | instid1(VALU_DEP_1)
	v_div_fixup_f64 v[4:5], v[4:5], v[2:3], v[0:1]
	v_fma_f64 v[0:1], v[0:1], v[4:5], v[2:3]
	s_delay_alu instid0(VALU_DEP_1) | instskip(NEXT) | instid1(VALU_DEP_1)
	v_div_scale_f64 v[2:3], null, v[0:1], v[0:1], 1.0
	v_rcp_f64_e32 v[6:7], v[2:3]
	s_delay_alu instid0(TRANS32_DEP_1) | instskip(NEXT) | instid1(VALU_DEP_1)
	v_fma_f64 v[50:51], -v[2:3], v[6:7], 1.0
	v_fma_f64 v[6:7], v[6:7], v[50:51], v[6:7]
	s_delay_alu instid0(VALU_DEP_1) | instskip(NEXT) | instid1(VALU_DEP_1)
	v_fma_f64 v[50:51], -v[2:3], v[6:7], 1.0
	v_fma_f64 v[6:7], v[6:7], v[50:51], v[6:7]
	v_div_scale_f64 v[50:51], vcc_lo, 1.0, v[0:1], 1.0
	s_delay_alu instid0(VALU_DEP_1) | instskip(NEXT) | instid1(VALU_DEP_1)
	v_mul_f64_e32 v[52:53], v[50:51], v[6:7]
	v_fma_f64 v[2:3], -v[2:3], v[52:53], v[50:51]
	s_wait_alu 0xfffd
	s_delay_alu instid0(VALU_DEP_1) | instskip(NEXT) | instid1(VALU_DEP_1)
	v_div_fmas_f64 v[2:3], v[2:3], v[6:7], v[52:53]
	v_div_fixup_f64 v[6:7], v[2:3], v[0:1], 1.0
                                        ; implicit-def: $vgpr0_vgpr1
	s_delay_alu instid0(VALU_DEP_1)
	v_mul_f64_e32 v[4:5], v[4:5], v[6:7]
	v_xor_b32_e32 v7, 0x80000000, v7
.LBB30_32:                              ;   in Loop: Header=BB30_4 Depth=1
	s_wait_alu 0xfffe
	s_and_not1_saveexec_b32 s47, s47
	s_cbranch_execz .LBB30_34
; %bb.33:                               ;   in Loop: Header=BB30_4 Depth=1
	v_div_scale_f64 v[4:5], null, v[0:1], v[0:1], v[2:3]
	v_div_scale_f64 v[52:53], vcc_lo, v[2:3], v[0:1], v[2:3]
	s_delay_alu instid0(VALU_DEP_2) | instskip(NEXT) | instid1(TRANS32_DEP_1)
	v_rcp_f64_e32 v[6:7], v[4:5]
	v_fma_f64 v[50:51], -v[4:5], v[6:7], 1.0
	s_delay_alu instid0(VALU_DEP_1) | instskip(NEXT) | instid1(VALU_DEP_1)
	v_fma_f64 v[6:7], v[6:7], v[50:51], v[6:7]
	v_fma_f64 v[50:51], -v[4:5], v[6:7], 1.0
	s_delay_alu instid0(VALU_DEP_1) | instskip(NEXT) | instid1(VALU_DEP_1)
	v_fma_f64 v[6:7], v[6:7], v[50:51], v[6:7]
	v_mul_f64_e32 v[50:51], v[52:53], v[6:7]
	s_delay_alu instid0(VALU_DEP_1) | instskip(SKIP_1) | instid1(VALU_DEP_1)
	v_fma_f64 v[4:5], -v[4:5], v[50:51], v[52:53]
	s_wait_alu 0xfffd
	v_div_fmas_f64 v[4:5], v[4:5], v[6:7], v[50:51]
	s_delay_alu instid0(VALU_DEP_1) | instskip(NEXT) | instid1(VALU_DEP_1)
	v_div_fixup_f64 v[6:7], v[4:5], v[0:1], v[2:3]
	v_fma_f64 v[0:1], v[2:3], v[6:7], v[0:1]
	s_delay_alu instid0(VALU_DEP_1) | instskip(NEXT) | instid1(VALU_DEP_1)
	v_div_scale_f64 v[2:3], null, v[0:1], v[0:1], 1.0
	v_rcp_f64_e32 v[4:5], v[2:3]
	s_delay_alu instid0(TRANS32_DEP_1) | instskip(NEXT) | instid1(VALU_DEP_1)
	v_fma_f64 v[50:51], -v[2:3], v[4:5], 1.0
	v_fma_f64 v[4:5], v[4:5], v[50:51], v[4:5]
	s_delay_alu instid0(VALU_DEP_1) | instskip(NEXT) | instid1(VALU_DEP_1)
	v_fma_f64 v[50:51], -v[2:3], v[4:5], 1.0
	v_fma_f64 v[4:5], v[4:5], v[50:51], v[4:5]
	v_div_scale_f64 v[50:51], vcc_lo, 1.0, v[0:1], 1.0
	s_delay_alu instid0(VALU_DEP_1) | instskip(NEXT) | instid1(VALU_DEP_1)
	v_mul_f64_e32 v[52:53], v[50:51], v[4:5]
	v_fma_f64 v[2:3], -v[2:3], v[52:53], v[50:51]
	s_wait_alu 0xfffd
	s_delay_alu instid0(VALU_DEP_1) | instskip(NEXT) | instid1(VALU_DEP_1)
	v_div_fmas_f64 v[2:3], v[2:3], v[4:5], v[52:53]
	v_div_fixup_f64 v[4:5], v[2:3], v[0:1], 1.0
	s_delay_alu instid0(VALU_DEP_1)
	v_mul_f64_e64 v[6:7], v[6:7], -v[4:5]
.LBB30_34:                              ;   in Loop: Header=BB30_4 Depth=1
	s_wait_alu 0xfffe
	s_or_b32 exec_lo, exec_lo, s47
.LBB30_35:                              ;   in Loop: Header=BB30_4 Depth=1
	s_wait_alu 0xfffe
	s_or_b32 exec_lo, exec_lo, s7
	s_branch .LBB30_37
.LBB30_36:                              ;   in Loop: Header=BB30_4 Depth=1
	v_mov_b32_e32 v6, 0
	v_dual_mov_b32 v7, 0 :: v_dual_mov_b32 v4, 0
	v_mov_b32_e32 v5, 0x3ff00000
.LBB30_37:                              ;   in Loop: Header=BB30_4 Depth=1
	ds_store_b128 v24, v[4:7]
.LBB30_38:                              ;   in Loop: Header=BB30_4 Depth=1
	s_wait_alu 0xfffe
	s_or_b32 exec_lo, exec_lo, s25
	s_wait_loadcnt_dscnt 0x0
	s_barrier_signal -1
	s_barrier_wait -1
	global_inv scope:SCOPE_SE
	s_and_saveexec_b32 s7, s2
	s_cbranch_execz .LBB30_50
; %bb.39:                               ;   in Loop: Header=BB30_4 Depth=1
	v_dual_mov_b32 v4, v35 :: v_dual_mov_b32 v5, v34
	s_mov_b32 s25, 0
	s_branch .LBB30_41
.LBB30_40:                              ;   in Loop: Header=BB30_41 Depth=2
	v_add_nc_u32_e32 v5, s24, v5
	v_add_nc_u32_e32 v4, s23, v4
	s_cmp_eq_u32 s25, s22
	s_cbranch_scc1 .LBB30_50
.LBB30_41:                              ;   Parent Loop BB30_4 Depth=1
                                        ; =>  This Loop Header: Depth=2
                                        ;       Child Loop BB30_46 Depth 3
	v_mov_b32_e32 v0, 0
	v_dual_mov_b32 v1, 0 :: v_dual_mov_b32 v2, 0
	v_mov_b32_e32 v3, 0
	s_wait_alu 0xfffe
	s_mul_i32 s47, s25, s22
	s_mov_b32 s48, exec_lo
	v_cmpx_lt_i32_e64 s25, v8
	s_cbranch_execz .LBB30_43
; %bb.42:                               ;   in Loop: Header=BB30_41 Depth=2
	s_wait_alu 0xfffe
	s_lshl_b32 s49, s47, 4
	s_lshl_b32 s50, s25, 4
	s_wait_alu 0xfffe
	v_add_nc_u32_e32 v6, s49, v19
	v_add3_u32 v0, s49, s50, v18
	ds_load_b128 v[0:3], v0
	ds_load_b128 v[50:53], v6
	s_wait_dscnt 0x0
	v_mul_f64_e32 v[6:7], v[2:3], v[52:53]
	v_mul_f64_e32 v[52:53], v[0:1], v[52:53]
	s_delay_alu instid0(VALU_DEP_2) | instskip(NEXT) | instid1(VALU_DEP_2)
	v_fma_f64 v[0:1], v[0:1], v[50:51], -v[6:7]
	v_fma_f64 v[2:3], v[2:3], v[50:51], v[52:53]
	s_delay_alu instid0(VALU_DEP_2) | instskip(NEXT) | instid1(VALU_DEP_2)
	v_add_f64_e32 v[0:1], 0, v[0:1]
	v_add_f64_e32 v[2:3], 0, v[2:3]
.LBB30_43:                              ;   in Loop: Header=BB30_41 Depth=2
	s_wait_alu 0xfffe
	s_or_b32 exec_lo, exec_lo, s48
	s_add_co_i32 s25, s25, 1
	s_wait_alu 0xfffe
	s_cmp_ge_u32 s25, s22
	s_cbranch_scc1 .LBB30_40
; %bb.44:                               ;   in Loop: Header=BB30_41 Depth=2
	v_lshl_add_u32 v6, s47, 4, v19
	v_dual_mov_b32 v7, v4 :: v_dual_mov_b32 v50, v5
	s_mov_b32 s47, s25
	s_branch .LBB30_46
.LBB30_45:                              ;   in Loop: Header=BB30_46 Depth=3
	s_wait_alu 0xfffe
	s_or_b32 exec_lo, exec_lo, s48
	v_add_nc_u32_e32 v50, s24, v50
	v_add_nc_u32_e32 v7, 16, v7
	s_add_co_i32 s47, s47, 1
	s_wait_alu 0xfffe
	s_cmp_eq_u32 s22, s47
	s_cbranch_scc1 .LBB30_40
.LBB30_46:                              ;   Parent Loop BB30_4 Depth=1
                                        ;     Parent Loop BB30_41 Depth=2
                                        ; =>    This Inner Loop Header: Depth=3
	s_mov_b32 s48, exec_lo
	s_wait_alu 0xfffe
	v_cmpx_eq_u32_e64 s47, v8
	s_cbranch_execz .LBB30_48
; %bb.47:                               ;   in Loop: Header=BB30_46 Depth=3
	ds_load_b128 v[51:54], v24
	v_add_f64_e64 v[55:56], -v[0:1], 0
	s_wait_dscnt 0x0
	v_mul_f64_e32 v[57:58], v[2:3], v[53:54]
	v_mul_f64_e32 v[59:60], v[2:3], v[51:52]
	s_delay_alu instid0(VALU_DEP_2) | instskip(NEXT) | instid1(VALU_DEP_2)
	v_fma_f64 v[51:52], v[55:56], v[51:52], v[57:58]
	v_fma_f64 v[53:54], v[55:56], v[53:54], -v[59:60]
	ds_store_b128 v6, v[51:54]
.LBB30_48:                              ;   in Loop: Header=BB30_46 Depth=3
	s_or_b32 exec_lo, exec_lo, s48
	s_delay_alu instid0(SALU_CYCLE_1)
	s_mov_b32 s48, exec_lo
	v_cmpx_lt_i32_e64 s47, v8
	s_cbranch_execz .LBB30_45
; %bb.49:                               ;   in Loop: Header=BB30_46 Depth=3
	ds_load_b128 v[51:54], v7
	ds_load_b128 v[55:58], v50
	s_wait_dscnt 0x0
	v_mul_f64_e32 v[59:60], v[53:54], v[57:58]
	v_mul_f64_e32 v[57:58], v[51:52], v[57:58]
	s_delay_alu instid0(VALU_DEP_2) | instskip(NEXT) | instid1(VALU_DEP_2)
	v_fma_f64 v[51:52], v[51:52], v[55:56], -v[59:60]
	v_fma_f64 v[53:54], v[53:54], v[55:56], v[57:58]
	s_delay_alu instid0(VALU_DEP_2) | instskip(NEXT) | instid1(VALU_DEP_2)
	v_add_f64_e32 v[0:1], v[0:1], v[51:52]
	v_add_f64_e32 v[2:3], v[2:3], v[53:54]
	s_branch .LBB30_45
.LBB30_50:                              ;   in Loop: Header=BB30_4 Depth=1
	s_wait_alu 0xfffe
	s_or_b32 exec_lo, exec_lo, s7
	s_delay_alu instid0(SALU_CYCLE_1)
	s_and_b32 vcc_lo, exec_lo, s43
	s_wait_loadcnt_dscnt 0x0
	s_barrier_signal -1
	s_barrier_wait -1
	global_inv scope:SCOPE_SE
	s_wait_alu 0xfffe
	s_cbranch_vccz .LBB30_56
; %bb.51:                               ;   in Loop: Header=BB30_4 Depth=1
	s_mov_b32 s25, 0
	s_mov_b32 s7, 0
                                        ; implicit-def: $vgpr0_vgpr1
	s_and_saveexec_b32 s47, s1
	s_cbranch_execz .LBB30_55
; %bb.52:                               ;   in Loop: Header=BB30_4 Depth=1
	v_mov_b32_e32 v0, 0
	v_dual_mov_b32 v2, 0 :: v_dual_mov_b32 v5, v36
	v_dual_mov_b32 v1, 0 :: v_dual_mov_b32 v4, v27
	v_mov_b32_e32 v3, 0
	s_mov_b32 s48, -1
.LBB30_53:                              ;   Parent Loop BB30_4 Depth=1
                                        ; =>  This Inner Loop Header: Depth=2
	ds_load_b128 v[50:53], v5
	ds_load_b128 v[54:57], v4
	s_wait_alu 0xfffe
	s_add_co_i32 s48, s48, 1
	v_add_nc_u32_e32 v5, -16, v5
	s_wait_alu 0xfffe
	v_cmp_ge_u32_e32 vcc_lo, s48, v22
	v_add_nc_u32_e32 v4, 0x100, v4
	s_or_b32 s7, vcc_lo, s7
	s_wait_dscnt 0x0
	v_mul_f64_e32 v[6:7], v[52:53], v[56:57]
	v_mul_f64_e32 v[56:57], v[50:51], v[56:57]
	s_delay_alu instid0(VALU_DEP_2) | instskip(NEXT) | instid1(VALU_DEP_2)
	v_fma_f64 v[6:7], v[50:51], v[54:55], -v[6:7]
	v_fma_f64 v[50:51], v[52:53], v[54:55], v[56:57]
	s_delay_alu instid0(VALU_DEP_2) | instskip(NEXT) | instid1(VALU_DEP_2)
	v_add_f64_e32 v[2:3], v[2:3], v[6:7]
	v_add_f64_e32 v[0:1], v[0:1], v[50:51]
	s_wait_alu 0xfffe
	s_and_not1_b32 exec_lo, exec_lo, s7
	s_cbranch_execnz .LBB30_53
; %bb.54:                               ;   in Loop: Header=BB30_4 Depth=1
	s_or_b32 exec_lo, exec_lo, s7
	v_add_nc_u32_e32 v4, v28, v26
	s_mov_b32 s7, exec_lo
	ds_store_b64 v4, v[2:3]
.LBB30_55:                              ;   in Loop: Header=BB30_4 Depth=1
	s_wait_alu 0xfffe
	s_or_b32 exec_lo, exec_lo, s47
	s_delay_alu instid0(SALU_CYCLE_1)
	s_and_b32 vcc_lo, exec_lo, s25
	s_wait_alu 0xfffe
	s_cbranch_vccnz .LBB30_57
	s_branch .LBB30_64
.LBB30_56:                              ;   in Loop: Header=BB30_4 Depth=1
	s_mov_b32 s7, 0
                                        ; implicit-def: $vgpr0_vgpr1
	s_cbranch_execz .LBB30_64
.LBB30_57:                              ;   in Loop: Header=BB30_4 Depth=1
                                        ; implicit-def: $vgpr0_vgpr1
	s_and_saveexec_b32 s25, s1
	s_cbranch_execz .LBB30_63
; %bb.58:                               ;   in Loop: Header=BB30_4 Depth=1
	v_mov_b32_e32 v0, 0
	v_dual_mov_b32 v1, 0 :: v_dual_mov_b32 v2, 0
	v_mov_b32_e32 v3, 0
	s_and_saveexec_b32 s47, s6
	s_cbranch_execz .LBB30_62
; %bb.59:                               ;   in Loop: Header=BB30_4 Depth=1
	v_dual_mov_b32 v0, 0 :: v_dual_mov_b32 v5, v38
	v_dual_mov_b32 v2, 0 :: v_dual_mov_b32 v1, 0
	;; [unrolled: 1-line block ×3, first 2 shown]
	v_mov_b32_e32 v6, v37
	s_mov_b32 s48, 0
.LBB30_60:                              ;   Parent Loop BB30_4 Depth=1
                                        ; =>  This Inner Loop Header: Depth=2
	ds_load_b128 v[50:53], v5
	ds_load_b128 v[54:57], v4
	v_add_nc_u32_e32 v6, 1, v6
	v_add_nc_u32_e32 v5, 16, v5
	;; [unrolled: 1-line block ×3, first 2 shown]
	s_delay_alu instid0(VALU_DEP_3)
	v_cmp_lt_u32_e32 vcc_lo, 14, v6
	s_wait_alu 0xfffe
	s_or_b32 s48, vcc_lo, s48
	s_wait_dscnt 0x0
	v_mul_f64_e32 v[58:59], v[52:53], v[56:57]
	v_mul_f64_e32 v[56:57], v[50:51], v[56:57]
	s_delay_alu instid0(VALU_DEP_2) | instskip(NEXT) | instid1(VALU_DEP_2)
	v_fma_f64 v[50:51], v[50:51], v[54:55], -v[58:59]
	v_fma_f64 v[52:53], v[52:53], v[54:55], v[56:57]
	s_delay_alu instid0(VALU_DEP_2) | instskip(NEXT) | instid1(VALU_DEP_2)
	v_add_f64_e32 v[2:3], v[2:3], v[50:51]
	v_add_f64_e32 v[0:1], v[0:1], v[52:53]
	s_wait_alu 0xfffe
	s_and_not1_b32 exec_lo, exec_lo, s48
	s_cbranch_execnz .LBB30_60
; %bb.61:                               ;   in Loop: Header=BB30_4 Depth=1
	s_or_b32 exec_lo, exec_lo, s48
.LBB30_62:                              ;   in Loop: Header=BB30_4 Depth=1
	s_wait_alu 0xfffe
	s_or_b32 exec_lo, exec_lo, s47
	v_add_nc_u32_e32 v4, v28, v26
	s_or_b32 s7, s7, exec_lo
	ds_store_b64 v4, v[2:3]
.LBB30_63:                              ;   in Loop: Header=BB30_4 Depth=1
	s_wait_alu 0xfffe
	s_or_b32 exec_lo, exec_lo, s25
.LBB30_64:                              ;   in Loop: Header=BB30_4 Depth=1
	s_wait_alu 0xfffe
	s_and_saveexec_b32 s25, s7
; %bb.65:                               ;   in Loop: Header=BB30_4 Depth=1
	v_add_nc_u32_e32 v2, v28, v26
	ds_store_b64 v2, v[0:1] offset:8
; %bb.66:                               ;   in Loop: Header=BB30_4 Depth=1
	s_wait_alu 0xfffe
	s_or_b32 exec_lo, exec_lo, s25
	v_add_co_u32 v0, vcc_lo, v16, s16
	s_wait_alu 0xfffd
	v_add_co_ci_u32_e64 v1, null, s17, v17, vcc_lo
	s_wait_loadcnt_dscnt 0x0
	s_delay_alu instid0(VALU_DEP_2) | instskip(SKIP_1) | instid1(VALU_DEP_2)
	v_add_co_u32 v0, vcc_lo, v0, s36
	s_wait_alu 0xfffd
	v_add_co_ci_u32_e64 v1, null, s37, v1, vcc_lo
	s_barrier_signal -1
	s_delay_alu instid0(VALU_DEP_2) | instskip(SKIP_1) | instid1(VALU_DEP_2)
	v_add_co_u32 v6, vcc_lo, v0, s34
	s_wait_alu 0xfffd
	v_add_co_ci_u32_e64 v7, null, s35, v1, vcc_lo
	s_and_b32 vcc_lo, exec_lo, s43
	s_barrier_wait -1
	global_inv scope:SCOPE_SE
	s_wait_alu 0xfffe
	s_cbranch_vccz .LBB30_72
; %bb.67:                               ;   in Loop: Header=BB30_4 Depth=1
	s_mov_b32 s25, 0
	s_mov_b32 s7, 0
                                        ; implicit-def: $vgpr0_vgpr1
                                        ; implicit-def: $vgpr2_vgpr3
	s_and_saveexec_b32 s47, s1
	s_cbranch_execz .LBB30_71
; %bb.68:                               ;   in Loop: Header=BB30_4 Depth=1
	v_dual_mov_b32 v4, 0 :: v_dual_mov_b32 v3, v41
	v_dual_mov_b32 v0, 0 :: v_dual_mov_b32 v5, 0
	;; [unrolled: 1-line block ×3, first 2 shown]
	v_mov_b32_e32 v50, v40
.LBB30_69:                              ;   Parent Loop BB30_4 Depth=1
                                        ; =>  This Inner Loop Header: Depth=2
	ds_load_b128 v[51:54], v2
	ds_load_b128 v[55:58], v3
	v_add_nc_u32_e32 v50, 1, v50
	v_add_nc_u32_e32 v3, 16, v3
	;; [unrolled: 1-line block ×3, first 2 shown]
	s_delay_alu instid0(VALU_DEP_3)
	v_cmp_lt_u32_e32 vcc_lo, 14, v50
	s_wait_alu 0xfffe
	s_or_b32 s7, vcc_lo, s7
	s_wait_dscnt 0x0
	v_mul_f64_e32 v[59:60], v[51:52], v[55:56]
	v_mul_f64_e32 v[51:52], v[51:52], v[57:58]
	s_delay_alu instid0(VALU_DEP_2) | instskip(NEXT) | instid1(VALU_DEP_2)
	v_fma_f64 v[57:58], v[53:54], v[57:58], -v[59:60]
	v_fma_f64 v[51:52], v[55:56], -v[53:54], -v[51:52]
	s_delay_alu instid0(VALU_DEP_2) | instskip(NEXT) | instid1(VALU_DEP_2)
	v_add_f64_e32 v[4:5], v[4:5], v[57:58]
	v_add_f64_e32 v[0:1], v[0:1], v[51:52]
	s_wait_alu 0xfffe
	s_and_not1_b32 exec_lo, exec_lo, s7
	s_cbranch_execnz .LBB30_69
; %bb.70:                               ;   in Loop: Header=BB30_4 Depth=1
	s_or_b32 exec_lo, exec_lo, s7
	s_lshl_b64 s[48:49], s[12:13], 4
	v_lshlrev_b64_e32 v[2:3], 4, v[10:11]
	s_wait_alu 0xfffe
	v_add_co_u32 v50, vcc_lo, v6, s48
	s_wait_alu 0xfffd
	v_add_co_ci_u32_e64 v51, null, s49, v7, vcc_lo
	s_mov_b32 s7, exec_lo
	v_add_co_u32 v50, vcc_lo, v50, v48
	s_wait_alu 0xfffd
	v_add_co_ci_u32_e64 v51, null, 0, v51, vcc_lo
	s_delay_alu instid0(VALU_DEP_2) | instskip(SKIP_1) | instid1(VALU_DEP_2)
	v_add_co_u32 v2, vcc_lo, v50, v2
	s_wait_alu 0xfffd
	v_add_co_ci_u32_e64 v3, null, v51, v3, vcc_lo
	flat_store_b64 v[2:3], v[4:5]
.LBB30_71:                              ;   in Loop: Header=BB30_4 Depth=1
	s_wait_alu 0xfffe
	s_or_b32 exec_lo, exec_lo, s47
	s_delay_alu instid0(SALU_CYCLE_1)
	s_and_b32 vcc_lo, exec_lo, s25
	s_wait_alu 0xfffe
	s_cbranch_vccnz .LBB30_73
	s_branch .LBB30_78
.LBB30_72:                              ;   in Loop: Header=BB30_4 Depth=1
	s_mov_b32 s7, 0
                                        ; implicit-def: $vgpr0_vgpr1
                                        ; implicit-def: $vgpr2_vgpr3
	s_cbranch_execz .LBB30_78
.LBB30_73:                              ;   in Loop: Header=BB30_4 Depth=1
                                        ; implicit-def: $vgpr0_vgpr1
                                        ; implicit-def: $vgpr2_vgpr3
	s_and_saveexec_b32 s25, s1
	s_cbranch_execz .LBB30_77
; %bb.74:                               ;   in Loop: Header=BB30_4 Depth=1
	v_mov_b32_e32 v4, 0
	v_dual_mov_b32 v0, 0 :: v_dual_mov_b32 v3, v43
	v_dual_mov_b32 v5, 0 :: v_dual_mov_b32 v2, v44
	v_mov_b32_e32 v1, 0
	s_mov_b32 s48, -1
	s_mov_b32 s47, 0
.LBB30_75:                              ;   Parent Loop BB30_4 Depth=1
                                        ; =>  This Inner Loop Header: Depth=2
	ds_load_b128 v[50:53], v2
	ds_load_b128 v[54:57], v3
	s_wait_alu 0xfffe
	s_add_co_i32 s48, s48, 1
	v_add_nc_u32_e32 v3, 16, v3
	s_wait_alu 0xfffe
	v_cmp_ge_u32_e32 vcc_lo, s48, v23
	v_add_nc_u32_e32 v2, s24, v2
	s_or_b32 s47, vcc_lo, s47
	s_wait_dscnt 0x0
	v_mul_f64_e32 v[58:59], v[50:51], v[54:55]
	v_mul_f64_e32 v[50:51], v[50:51], v[56:57]
	s_delay_alu instid0(VALU_DEP_2) | instskip(NEXT) | instid1(VALU_DEP_2)
	v_fma_f64 v[56:57], v[52:53], v[56:57], -v[58:59]
	v_fma_f64 v[50:51], v[54:55], -v[52:53], -v[50:51]
	s_delay_alu instid0(VALU_DEP_2) | instskip(NEXT) | instid1(VALU_DEP_2)
	v_add_f64_e32 v[4:5], v[4:5], v[56:57]
	v_add_f64_e32 v[0:1], v[0:1], v[50:51]
	s_wait_alu 0xfffe
	s_and_not1_b32 exec_lo, exec_lo, s47
	s_cbranch_execnz .LBB30_75
; %bb.76:                               ;   in Loop: Header=BB30_4 Depth=1
	s_or_b32 exec_lo, exec_lo, s47
	v_lshlrev_b64_e32 v[2:3], 4, v[10:11]
	s_or_b32 s7, s7, exec_lo
	s_delay_alu instid0(VALU_DEP_1) | instskip(SKIP_1) | instid1(VALU_DEP_2)
	v_add_co_u32 v2, vcc_lo, v6, v2
	s_wait_alu 0xfffd
	v_add_co_ci_u32_e64 v3, null, v7, v3, vcc_lo
	s_delay_alu instid0(VALU_DEP_2) | instskip(SKIP_1) | instid1(VALU_DEP_2)
	v_add_co_u32 v2, vcc_lo, v2, v49
	s_wait_alu 0xfffd
	v_add_co_ci_u32_e64 v3, null, 0, v3, vcc_lo
	flat_store_b64 v[2:3], v[4:5]
.LBB30_77:                              ;   in Loop: Header=BB30_4 Depth=1
	s_wait_alu 0xfffe
	s_or_b32 exec_lo, exec_lo, s25
.LBB30_78:                              ;   in Loop: Header=BB30_4 Depth=1
	s_wait_alu 0xfffe
	s_and_saveexec_b32 s25, s7
	s_cbranch_execz .LBB30_80
; %bb.79:                               ;   in Loop: Header=BB30_4 Depth=1
	flat_store_b64 v[2:3], v[0:1] offset:8
.LBB30_80:                              ;   in Loop: Header=BB30_4 Depth=1
	s_wait_alu 0xfffe
	s_or_b32 exec_lo, exec_lo, s25
	s_and_saveexec_b32 s25, s2
	s_cbranch_execz .LBB30_2
; %bb.81:                               ;   in Loop: Header=BB30_4 Depth=1
	s_and_b32 vcc_lo, exec_lo, s43
	s_mov_b32 s7, -1
	s_wait_alu 0xfffe
	s_cbranch_vccz .LBB30_86
; %bb.82:                               ;   in Loop: Header=BB30_4 Depth=1
	s_and_saveexec_b32 s47, s4
	s_cbranch_execz .LBB30_85
; %bb.83:                               ;   in Loop: Header=BB30_4 Depth=1
	v_add_co_u32 v0, vcc_lo, v16, v45
	s_wait_alu 0xfffd
	v_add_co_ci_u32_e64 v1, null, v17, v46, vcc_lo
	v_mov_b32_e32 v2, v31
	s_mov_b32 s48, 0
	s_mov_b32 s49, s22
.LBB30_84:                              ;   Parent Loop BB30_4 Depth=1
                                        ; =>  This Inner Loop Header: Depth=2
	ds_load_2addr_b64 v[50:53], v2 offset1:1
	s_wait_alu 0xfffe
	s_add_co_i32 s49, s49, -1
	v_add_nc_u32_e32 v2, s24, v2
	s_wait_alu 0xfffe
	v_cmp_le_i32_e32 vcc_lo, s49, v8
	s_or_b32 s48, vcc_lo, s48
	s_wait_dscnt 0x0
	flat_store_b128 v[0:1], v[50:53]
	v_add_co_u32 v0, s7, v0, s40
	s_wait_alu 0xf1ff
	v_add_co_ci_u32_e64 v1, null, s41, v1, s7
	s_wait_alu 0xfffe
	s_and_not1_b32 exec_lo, exec_lo, s48
	s_cbranch_execnz .LBB30_84
.LBB30_85:                              ;   in Loop: Header=BB30_4 Depth=1
	s_wait_alu 0xfffe
	s_or_b32 exec_lo, exec_lo, s47
	s_mov_b32 s7, 0
.LBB30_86:                              ;   in Loop: Header=BB30_4 Depth=1
	s_wait_alu 0xfffe
	s_and_not1_b32 vcc_lo, exec_lo, s7
	s_wait_alu 0xfffe
	s_cbranch_vccnz .LBB30_2
; %bb.87:                               ;   in Loop: Header=BB30_4 Depth=1
	s_and_b32 exec_lo, exec_lo, s5
	s_cbranch_execz .LBB30_2
; %bb.88:                               ;   in Loop: Header=BB30_4 Depth=1
	v_lshlrev_b64_e32 v[0:1], 4, v[8:9]
	v_add_co_u32 v2, vcc_lo, v6, v12
	s_wait_alu 0xfffd
	v_add_co_ci_u32_e64 v3, null, v7, v13, vcc_lo
	s_mov_b32 s47, 0
	v_add_co_u32 v0, vcc_lo, v2, v0
	s_wait_alu 0xfffd
	v_add_co_ci_u32_e64 v1, null, v3, v1, vcc_lo
	v_dual_mov_b32 v2, v19 :: v_dual_mov_b32 v3, v47
.LBB30_89:                              ;   Parent Loop BB30_4 Depth=1
                                        ; =>  This Inner Loop Header: Depth=2
	ds_load_2addr_b64 v[4:7], v2 offset1:1
	v_add_nc_u32_e32 v3, -1, v3
	v_add_nc_u32_e32 v2, s24, v2
	s_delay_alu instid0(VALU_DEP_2)
	v_cmp_eq_u32_e32 vcc_lo, 0, v3
	s_wait_alu 0xfffe
	s_or_b32 s47, vcc_lo, s47
	s_wait_dscnt 0x0
	flat_store_b128 v[0:1], v[4:7]
	v_add_co_u32 v0, s7, v0, s38
	s_wait_alu 0xf1ff
	v_add_co_ci_u32_e64 v1, null, s39, v1, s7
	s_wait_alu 0xfffe
	s_and_not1_b32 exec_lo, exec_lo, s47
	s_cbranch_execnz .LBB30_89
	s_branch .LBB30_2
.LBB30_90:
	s_endpgm
	.section	.rodata,"a",@progbits
	.p2align	6, 0x0
	.amdhsa_kernel _ZL29rocblas_trtri_diagonal_kernelILi16E19rocblas_complex_numIdEPKPKS1_PKPS1_Ev13rocblas_fill_17rocblas_diagonal_iT1_lillT2_lilli
		.amdhsa_group_segment_fixed_size 16384
		.amdhsa_private_segment_fixed_size 0
		.amdhsa_kernarg_size 100
		.amdhsa_user_sgpr_count 2
		.amdhsa_user_sgpr_dispatch_ptr 0
		.amdhsa_user_sgpr_queue_ptr 0
		.amdhsa_user_sgpr_kernarg_segment_ptr 1
		.amdhsa_user_sgpr_dispatch_id 0
		.amdhsa_user_sgpr_private_segment_size 0
		.amdhsa_wavefront_size32 1
		.amdhsa_uses_dynamic_stack 0
		.amdhsa_enable_private_segment 0
		.amdhsa_system_sgpr_workgroup_id_x 1
		.amdhsa_system_sgpr_workgroup_id_y 0
		.amdhsa_system_sgpr_workgroup_id_z 1
		.amdhsa_system_sgpr_workgroup_info 0
		.amdhsa_system_vgpr_workitem_id 0
		.amdhsa_next_free_vgpr 61
		.amdhsa_next_free_sgpr 52
		.amdhsa_reserve_vcc 1
		.amdhsa_float_round_mode_32 0
		.amdhsa_float_round_mode_16_64 0
		.amdhsa_float_denorm_mode_32 3
		.amdhsa_float_denorm_mode_16_64 3
		.amdhsa_fp16_overflow 0
		.amdhsa_workgroup_processor_mode 1
		.amdhsa_memory_ordered 1
		.amdhsa_forward_progress 1
		.amdhsa_inst_pref_size 36
		.amdhsa_round_robin_scheduling 0
		.amdhsa_exception_fp_ieee_invalid_op 0
		.amdhsa_exception_fp_denorm_src 0
		.amdhsa_exception_fp_ieee_div_zero 0
		.amdhsa_exception_fp_ieee_overflow 0
		.amdhsa_exception_fp_ieee_underflow 0
		.amdhsa_exception_fp_ieee_inexact 0
		.amdhsa_exception_int_div_zero 0
	.end_amdhsa_kernel
	.section	.text._ZL29rocblas_trtri_diagonal_kernelILi16E19rocblas_complex_numIdEPKPKS1_PKPS1_Ev13rocblas_fill_17rocblas_diagonal_iT1_lillT2_lilli,"axG",@progbits,_ZL29rocblas_trtri_diagonal_kernelILi16E19rocblas_complex_numIdEPKPKS1_PKPS1_Ev13rocblas_fill_17rocblas_diagonal_iT1_lillT2_lilli,comdat
.Lfunc_end30:
	.size	_ZL29rocblas_trtri_diagonal_kernelILi16E19rocblas_complex_numIdEPKPKS1_PKPS1_Ev13rocblas_fill_17rocblas_diagonal_iT1_lillT2_lilli, .Lfunc_end30-_ZL29rocblas_trtri_diagonal_kernelILi16E19rocblas_complex_numIdEPKPKS1_PKPS1_Ev13rocblas_fill_17rocblas_diagonal_iT1_lillT2_lilli
                                        ; -- End function
	.set _ZL29rocblas_trtri_diagonal_kernelILi16E19rocblas_complex_numIdEPKPKS1_PKPS1_Ev13rocblas_fill_17rocblas_diagonal_iT1_lillT2_lilli.num_vgpr, 61
	.set _ZL29rocblas_trtri_diagonal_kernelILi16E19rocblas_complex_numIdEPKPKS1_PKPS1_Ev13rocblas_fill_17rocblas_diagonal_iT1_lillT2_lilli.num_agpr, 0
	.set _ZL29rocblas_trtri_diagonal_kernelILi16E19rocblas_complex_numIdEPKPKS1_PKPS1_Ev13rocblas_fill_17rocblas_diagonal_iT1_lillT2_lilli.numbered_sgpr, 52
	.set _ZL29rocblas_trtri_diagonal_kernelILi16E19rocblas_complex_numIdEPKPKS1_PKPS1_Ev13rocblas_fill_17rocblas_diagonal_iT1_lillT2_lilli.num_named_barrier, 0
	.set _ZL29rocblas_trtri_diagonal_kernelILi16E19rocblas_complex_numIdEPKPKS1_PKPS1_Ev13rocblas_fill_17rocblas_diagonal_iT1_lillT2_lilli.private_seg_size, 0
	.set _ZL29rocblas_trtri_diagonal_kernelILi16E19rocblas_complex_numIdEPKPKS1_PKPS1_Ev13rocblas_fill_17rocblas_diagonal_iT1_lillT2_lilli.uses_vcc, 1
	.set _ZL29rocblas_trtri_diagonal_kernelILi16E19rocblas_complex_numIdEPKPKS1_PKPS1_Ev13rocblas_fill_17rocblas_diagonal_iT1_lillT2_lilli.uses_flat_scratch, 0
	.set _ZL29rocblas_trtri_diagonal_kernelILi16E19rocblas_complex_numIdEPKPKS1_PKPS1_Ev13rocblas_fill_17rocblas_diagonal_iT1_lillT2_lilli.has_dyn_sized_stack, 0
	.set _ZL29rocblas_trtri_diagonal_kernelILi16E19rocblas_complex_numIdEPKPKS1_PKPS1_Ev13rocblas_fill_17rocblas_diagonal_iT1_lillT2_lilli.has_recursion, 0
	.set _ZL29rocblas_trtri_diagonal_kernelILi16E19rocblas_complex_numIdEPKPKS1_PKPS1_Ev13rocblas_fill_17rocblas_diagonal_iT1_lillT2_lilli.has_indirect_call, 0
	.section	.AMDGPU.csdata,"",@progbits
; Kernel info:
; codeLenInByte = 4560
; TotalNumSgprs: 54
; NumVgprs: 61
; ScratchSize: 0
; MemoryBound: 1
; FloatMode: 240
; IeeeMode: 1
; LDSByteSize: 16384 bytes/workgroup (compile time only)
; SGPRBlocks: 0
; VGPRBlocks: 7
; NumSGPRsForWavesPerEU: 54
; NumVGPRsForWavesPerEU: 61
; Occupancy: 16
; WaveLimiterHint : 1
; COMPUTE_PGM_RSRC2:SCRATCH_EN: 0
; COMPUTE_PGM_RSRC2:USER_SGPR: 2
; COMPUTE_PGM_RSRC2:TRAP_HANDLER: 0
; COMPUTE_PGM_RSRC2:TGID_X_EN: 1
; COMPUTE_PGM_RSRC2:TGID_Y_EN: 0
; COMPUTE_PGM_RSRC2:TGID_Z_EN: 1
; COMPUTE_PGM_RSRC2:TIDIG_COMP_CNT: 0
	.section	.text._ZL30rocblas_trtri_remainder_kernelILi16E19rocblas_complex_numIdEPKPKS1_PKPS1_Ev13rocblas_fill_17rocblas_diagonal_iT1_lillT2_lilli,"axG",@progbits,_ZL30rocblas_trtri_remainder_kernelILi16E19rocblas_complex_numIdEPKPKS1_PKPS1_Ev13rocblas_fill_17rocblas_diagonal_iT1_lillT2_lilli,comdat
	.globl	_ZL30rocblas_trtri_remainder_kernelILi16E19rocblas_complex_numIdEPKPKS1_PKPS1_Ev13rocblas_fill_17rocblas_diagonal_iT1_lillT2_lilli ; -- Begin function _ZL30rocblas_trtri_remainder_kernelILi16E19rocblas_complex_numIdEPKPKS1_PKPS1_Ev13rocblas_fill_17rocblas_diagonal_iT1_lillT2_lilli
	.p2align	8
	.type	_ZL30rocblas_trtri_remainder_kernelILi16E19rocblas_complex_numIdEPKPKS1_PKPS1_Ev13rocblas_fill_17rocblas_diagonal_iT1_lillT2_lilli,@function
_ZL30rocblas_trtri_remainder_kernelILi16E19rocblas_complex_numIdEPKPKS1_PKPS1_Ev13rocblas_fill_17rocblas_diagonal_iT1_lillT2_lilli: ; @_ZL30rocblas_trtri_remainder_kernelILi16E19rocblas_complex_numIdEPKPKS1_PKPS1_Ev13rocblas_fill_17rocblas_diagonal_iT1_lillT2_lilli
; %bb.0:
	s_load_b32 s15, s[0:1], 0x60
	s_lshr_b32 s2, ttmp7, 16
	s_wait_kmcnt 0x0
	s_cmp_ge_u32 s2, s15
	s_cbranch_scc1 .LBB31_43
; %bb.1:
	s_clause 0x5
	s_load_b32 s22, s[0:1], 0x20
	s_load_b96 s[16:18], s[0:1], 0x40
	s_load_b128 s[4:7], s[0:1], 0x30
	s_load_b64 s[24:25], s[0:1], 0x58
	s_load_b96 s[12:14], s[0:1], 0x0
	s_load_b128 s[8:11], s[0:1], 0x10
	s_mov_b32 s3, 0
	s_mov_b32 s20, ttmp9
	s_mov_b32 s21, s3
	s_mov_b32 s27, s3
	v_dual_mov_b32 v11, 0 :: v_dual_lshlrev_b32 v12, 4, v0
	v_add_nc_u32_e32 v17, 1, v0
	v_lshlrev_b32_e32 v21, 4, v0
	s_wait_kmcnt 0x0
	s_ashr_i32 s23, s22, 31
	s_ashr_i32 s35, s18, 31
	s_mul_u64 s[4:5], s[4:5], s[20:21]
	s_mov_b32 s34, s18
	s_cmp_gt_i32 s14, 0
	s_mul_u64 s[20:21], s[24:25], s[20:21]
	s_cselect_b32 s28, -1, 0
	s_cmp_lg_u32 s12, 0x7a
	v_mul_lo_u32 v1, v0, s14
	s_cselect_b32 s29, -1, 0
	s_add_co_i32 s26, s14, -1
	s_cmp_lg_u32 s13, 0x84
	s_mul_u64 s[12:13], s[22:23], s[26:27]
	s_cselect_b32 s30, -1, 0
	s_lshl_b64 s[4:5], s[4:5], 4
	s_lshl_b64 s[12:13], s[12:13], 4
	;; [unrolled: 1-line block ×3, first 2 shown]
	s_add_nc_u64 s[12:13], s[4:5], s[12:13]
	s_lshl_b64 s[20:21], s[20:21], 4
	s_add_nc_u64 s[18:19], s[12:13], s[10:11]
	s_lshl_b64 s[12:13], s[22:23], 4
	s_mul_u64 s[22:23], s[34:35], s[26:27]
	s_lshl_b64 s[16:17], s[16:17], 4
	s_lshl_b64 s[22:23], s[22:23], 4
	v_sub_nc_u32_e32 v2, s26, v0
	s_add_nc_u64 s[22:23], s[20:21], s[22:23]
	v_add_co_u32 v15, s1, s18, v12
	s_add_nc_u64 s[22:23], s[22:23], s[16:17]
	s_lshl_b32 s31, s14, 4
	v_add_co_ci_u32_e64 v16, null, s19, 0, s1
	v_add_co_u32 v19, s1, s22, v12
	v_cmp_gt_u32_e64 s0, s14, v0
	v_add_lshl_u32 v13, v1, v0, 4
	v_lshlrev_b32_e32 v14, 4, v2
	v_add_nc_u32_e32 v18, s31, v12
	s_wait_alu 0xf1ff
	v_add_co_ci_u32_e64 v20, null, s23, 0, s1
	s_lshl_b64 s[22:23], s[34:35], 4
	s_sub_nc_u64 s[18:19], 0, s[12:13]
	s_add_co_i32 s33, s31, 16
	s_wait_alu 0xfffe
	s_sub_nc_u64 s[24:25], 0, s[22:23]
	s_branch .LBB31_4
.LBB31_2:                               ;   in Loop: Header=BB31_4 Depth=1
	s_wait_alu 0xfffe
	s_or_b32 exec_lo, exec_lo, s26
.LBB31_3:                               ;   in Loop: Header=BB31_4 Depth=1
	s_add_co_i32 s2, s2, 0x10000
	s_delay_alu instid0(SALU_CYCLE_1)
	s_cmp_lt_u32 s2, s15
	s_cbranch_scc0 .LBB31_43
.LBB31_4:                               ; =>This Loop Header: Depth=1
                                        ;     Child Loop BB31_8 Depth 2
                                        ;     Child Loop BB31_12 Depth 2
                                        ;     Child Loop BB31_26 Depth 2
                                        ;       Child Loop BB31_31 Depth 3
                                        ;     Child Loop BB31_38 Depth 2
                                        ;     Child Loop BB31_42 Depth 2
	s_and_not1_b32 vcc_lo, exec_lo, s28
	s_wait_alu 0xfffe
	s_cbranch_vccnz .LBB31_3
; %bb.5:                                ;   in Loop: Header=BB31_4 Depth=1
	s_lshl_b64 s[26:27], s[2:3], 3
	s_wait_alu 0xfffe
	s_add_nc_u64 s[34:35], s[6:7], s[26:27]
	global_load_b64 v[9:10], v11, s[34:35]
	s_and_saveexec_b32 s34, s0
	s_cbranch_execz .LBB31_13
; %bb.6:                                ;   in Loop: Header=BB31_4 Depth=1
	s_add_nc_u64 s[26:27], s[8:9], s[26:27]
	s_and_not1_b32 vcc_lo, exec_lo, s29
	global_load_b64 v[1:2], v11, s[26:27]
	s_mov_b32 s1, -1
	s_wait_alu 0xfffe
	s_cbranch_vccnz .LBB31_10
; %bb.7:                                ;   in Loop: Header=BB31_4 Depth=1
	s_wait_loadcnt 0x0
	v_add_co_u32 v3, vcc_lo, v1, v15
	s_wait_alu 0xfffd
	v_add_co_ci_u32_e64 v4, null, v2, v16, vcc_lo
	v_mov_b32_e32 v5, v14
	s_mov_b32 s26, 0
	s_mov_b32 s27, s14
.LBB31_8:                               ;   Parent Loop BB31_4 Depth=1
                                        ; =>  This Inner Loop Header: Depth=2
	flat_load_b128 v[22:25], v[3:4]
	s_wait_alu 0xfffe
	s_add_co_i32 s27, s27, -1
	v_add_co_u32 v3, vcc_lo, v3, s18
	s_wait_alu 0xfffe
	v_cmp_le_u32_e64 s1, s27, v0
	s_wait_alu 0xfffd
	v_add_co_ci_u32_e64 v4, null, s19, v4, vcc_lo
	s_or_b32 s26, s1, s26
	s_wait_loadcnt_dscnt 0x0
	ds_store_2addr_b64 v5, v[22:23], v[24:25] offset1:1
	v_add_nc_u32_e32 v5, s31, v5
	s_wait_alu 0xfffe
	s_and_not1_b32 exec_lo, exec_lo, s26
	s_cbranch_execnz .LBB31_8
; %bb.9:                                ;   in Loop: Header=BB31_4 Depth=1
	s_or_b32 exec_lo, exec_lo, s26
	s_mov_b32 s1, 0
.LBB31_10:                              ;   in Loop: Header=BB31_4 Depth=1
	s_wait_alu 0xfffe
	s_and_b32 vcc_lo, exec_lo, s1
	s_wait_alu 0xfffe
	s_cbranch_vccz .LBB31_13
; %bb.11:                               ;   in Loop: Header=BB31_4 Depth=1
	s_wait_loadcnt 0x0
	v_add_co_u32 v1, vcc_lo, v1, s10
	s_wait_alu 0xfffd
	v_add_co_ci_u32_e64 v2, null, s11, v2, vcc_lo
	v_dual_mov_b32 v3, v12 :: v_dual_mov_b32 v4, v17
	s_delay_alu instid0(VALU_DEP_3) | instskip(SKIP_1) | instid1(VALU_DEP_3)
	v_add_co_u32 v1, vcc_lo, v1, s4
	s_wait_alu 0xfffd
	v_add_co_ci_u32_e64 v2, null, s5, v2, vcc_lo
	s_mov_b32 s26, 0
	v_add_co_u32 v1, vcc_lo, v1, v21
	s_wait_alu 0xfffd
	v_add_co_ci_u32_e64 v2, null, 0, v2, vcc_lo
.LBB31_12:                              ;   Parent Loop BB31_4 Depth=1
                                        ; =>  This Inner Loop Header: Depth=2
	flat_load_b128 v[5:8], v[1:2]
	v_add_nc_u32_e32 v4, -1, v4
	v_add_co_u32 v1, vcc_lo, v1, s12
	s_wait_alu 0xfffd
	v_add_co_ci_u32_e64 v2, null, s13, v2, vcc_lo
	s_delay_alu instid0(VALU_DEP_3)
	v_cmp_eq_u32_e64 s1, 0, v4
	s_wait_alu 0xfffe
	s_or_b32 s26, s1, s26
	s_wait_loadcnt_dscnt 0x0
	ds_store_2addr_b64 v3, v[5:6], v[7:8] offset1:1
	v_add_nc_u32_e32 v3, s31, v3
	s_wait_alu 0xfffe
	s_and_not1_b32 exec_lo, exec_lo, s26
	s_cbranch_execnz .LBB31_12
.LBB31_13:                              ;   in Loop: Header=BB31_4 Depth=1
	s_wait_alu 0xfffe
	s_or_b32 exec_lo, exec_lo, s34
	s_wait_loadcnt_dscnt 0x0
	s_barrier_signal -1
	s_barrier_wait -1
	global_inv scope:SCOPE_SE
	s_and_saveexec_b32 s26, s0
	s_cbranch_execz .LBB31_24
; %bb.14:                               ;   in Loop: Header=BB31_4 Depth=1
	s_and_not1_b32 vcc_lo, exec_lo, s30
	s_wait_alu 0xfffe
	s_cbranch_vccnz .LBB31_22
; %bb.15:                               ;   in Loop: Header=BB31_4 Depth=1
	ds_load_b128 v[1:4], v13
	v_mov_b32_e32 v7, 0
	v_dual_mov_b32 v8, 0 :: v_dual_mov_b32 v5, 0
	v_mov_b32_e32 v6, 0x3ff00000
	s_wait_dscnt 0x0
	v_cmp_neq_f64_e32 vcc_lo, 0, v[1:2]
	v_cmp_neq_f64_e64 s1, 0, v[3:4]
	s_or_b32 s27, vcc_lo, s1
	s_wait_alu 0xfffe
	s_and_saveexec_b32 s1, s27
	s_cbranch_execz .LBB31_21
; %bb.16:                               ;   in Loop: Header=BB31_4 Depth=1
	v_cmp_ngt_f64_e64 s27, |v[1:2]|, |v[3:4]|
                                        ; implicit-def: $vgpr7_vgpr8
	s_and_saveexec_b32 s34, s27
	s_wait_alu 0xfffe
	s_xor_b32 s27, exec_lo, s34
	s_cbranch_execz .LBB31_18
; %bb.17:                               ;   in Loop: Header=BB31_4 Depth=1
	v_div_scale_f64 v[5:6], null, v[3:4], v[3:4], v[1:2]
	v_div_scale_f64 v[24:25], vcc_lo, v[1:2], v[3:4], v[1:2]
	s_delay_alu instid0(VALU_DEP_2) | instskip(NEXT) | instid1(TRANS32_DEP_1)
	v_rcp_f64_e32 v[7:8], v[5:6]
	v_fma_f64 v[22:23], -v[5:6], v[7:8], 1.0
	s_delay_alu instid0(VALU_DEP_1) | instskip(NEXT) | instid1(VALU_DEP_1)
	v_fma_f64 v[7:8], v[7:8], v[22:23], v[7:8]
	v_fma_f64 v[22:23], -v[5:6], v[7:8], 1.0
	s_delay_alu instid0(VALU_DEP_1) | instskip(NEXT) | instid1(VALU_DEP_1)
	v_fma_f64 v[7:8], v[7:8], v[22:23], v[7:8]
	v_mul_f64_e32 v[22:23], v[24:25], v[7:8]
	s_delay_alu instid0(VALU_DEP_1) | instskip(SKIP_1) | instid1(VALU_DEP_1)
	v_fma_f64 v[5:6], -v[5:6], v[22:23], v[24:25]
	s_wait_alu 0xfffd
	v_div_fmas_f64 v[5:6], v[5:6], v[7:8], v[22:23]
	s_delay_alu instid0(VALU_DEP_1) | instskip(NEXT) | instid1(VALU_DEP_1)
	v_div_fixup_f64 v[5:6], v[5:6], v[3:4], v[1:2]
	v_fma_f64 v[1:2], v[1:2], v[5:6], v[3:4]
	s_delay_alu instid0(VALU_DEP_1) | instskip(NEXT) | instid1(VALU_DEP_1)
	v_div_scale_f64 v[3:4], null, v[1:2], v[1:2], 1.0
	v_rcp_f64_e32 v[7:8], v[3:4]
	s_delay_alu instid0(TRANS32_DEP_1) | instskip(NEXT) | instid1(VALU_DEP_1)
	v_fma_f64 v[22:23], -v[3:4], v[7:8], 1.0
	v_fma_f64 v[7:8], v[7:8], v[22:23], v[7:8]
	s_delay_alu instid0(VALU_DEP_1) | instskip(NEXT) | instid1(VALU_DEP_1)
	v_fma_f64 v[22:23], -v[3:4], v[7:8], 1.0
	v_fma_f64 v[7:8], v[7:8], v[22:23], v[7:8]
	v_div_scale_f64 v[22:23], vcc_lo, 1.0, v[1:2], 1.0
	s_delay_alu instid0(VALU_DEP_1) | instskip(NEXT) | instid1(VALU_DEP_1)
	v_mul_f64_e32 v[24:25], v[22:23], v[7:8]
	v_fma_f64 v[3:4], -v[3:4], v[24:25], v[22:23]
	s_wait_alu 0xfffd
	s_delay_alu instid0(VALU_DEP_1) | instskip(NEXT) | instid1(VALU_DEP_1)
	v_div_fmas_f64 v[3:4], v[3:4], v[7:8], v[24:25]
	v_div_fixup_f64 v[7:8], v[3:4], v[1:2], 1.0
                                        ; implicit-def: $vgpr1_vgpr2
	s_delay_alu instid0(VALU_DEP_1)
	v_mul_f64_e32 v[5:6], v[5:6], v[7:8]
	v_xor_b32_e32 v8, 0x80000000, v8
.LBB31_18:                              ;   in Loop: Header=BB31_4 Depth=1
	s_wait_alu 0xfffe
	s_and_not1_saveexec_b32 s27, s27
	s_cbranch_execz .LBB31_20
; %bb.19:                               ;   in Loop: Header=BB31_4 Depth=1
	v_div_scale_f64 v[5:6], null, v[1:2], v[1:2], v[3:4]
	v_div_scale_f64 v[24:25], vcc_lo, v[3:4], v[1:2], v[3:4]
	s_delay_alu instid0(VALU_DEP_2) | instskip(NEXT) | instid1(TRANS32_DEP_1)
	v_rcp_f64_e32 v[7:8], v[5:6]
	v_fma_f64 v[22:23], -v[5:6], v[7:8], 1.0
	s_delay_alu instid0(VALU_DEP_1) | instskip(NEXT) | instid1(VALU_DEP_1)
	v_fma_f64 v[7:8], v[7:8], v[22:23], v[7:8]
	v_fma_f64 v[22:23], -v[5:6], v[7:8], 1.0
	s_delay_alu instid0(VALU_DEP_1) | instskip(NEXT) | instid1(VALU_DEP_1)
	v_fma_f64 v[7:8], v[7:8], v[22:23], v[7:8]
	v_mul_f64_e32 v[22:23], v[24:25], v[7:8]
	s_delay_alu instid0(VALU_DEP_1) | instskip(SKIP_1) | instid1(VALU_DEP_1)
	v_fma_f64 v[5:6], -v[5:6], v[22:23], v[24:25]
	s_wait_alu 0xfffd
	v_div_fmas_f64 v[5:6], v[5:6], v[7:8], v[22:23]
	s_delay_alu instid0(VALU_DEP_1) | instskip(NEXT) | instid1(VALU_DEP_1)
	v_div_fixup_f64 v[7:8], v[5:6], v[1:2], v[3:4]
	v_fma_f64 v[1:2], v[3:4], v[7:8], v[1:2]
	s_delay_alu instid0(VALU_DEP_1) | instskip(NEXT) | instid1(VALU_DEP_1)
	v_div_scale_f64 v[3:4], null, v[1:2], v[1:2], 1.0
	v_rcp_f64_e32 v[5:6], v[3:4]
	s_delay_alu instid0(TRANS32_DEP_1) | instskip(NEXT) | instid1(VALU_DEP_1)
	v_fma_f64 v[22:23], -v[3:4], v[5:6], 1.0
	v_fma_f64 v[5:6], v[5:6], v[22:23], v[5:6]
	s_delay_alu instid0(VALU_DEP_1) | instskip(NEXT) | instid1(VALU_DEP_1)
	v_fma_f64 v[22:23], -v[3:4], v[5:6], 1.0
	v_fma_f64 v[5:6], v[5:6], v[22:23], v[5:6]
	v_div_scale_f64 v[22:23], vcc_lo, 1.0, v[1:2], 1.0
	s_delay_alu instid0(VALU_DEP_1) | instskip(NEXT) | instid1(VALU_DEP_1)
	v_mul_f64_e32 v[24:25], v[22:23], v[5:6]
	v_fma_f64 v[3:4], -v[3:4], v[24:25], v[22:23]
	s_wait_alu 0xfffd
	s_delay_alu instid0(VALU_DEP_1) | instskip(NEXT) | instid1(VALU_DEP_1)
	v_div_fmas_f64 v[3:4], v[3:4], v[5:6], v[24:25]
	v_div_fixup_f64 v[5:6], v[3:4], v[1:2], 1.0
	s_delay_alu instid0(VALU_DEP_1)
	v_mul_f64_e64 v[7:8], v[7:8], -v[5:6]
.LBB31_20:                              ;   in Loop: Header=BB31_4 Depth=1
	s_wait_alu 0xfffe
	s_or_b32 exec_lo, exec_lo, s27
.LBB31_21:                              ;   in Loop: Header=BB31_4 Depth=1
	s_wait_alu 0xfffe
	s_or_b32 exec_lo, exec_lo, s1
	s_branch .LBB31_23
.LBB31_22:                              ;   in Loop: Header=BB31_4 Depth=1
	v_mov_b32_e32 v7, 0
	v_dual_mov_b32 v8, 0 :: v_dual_mov_b32 v5, 0
	v_mov_b32_e32 v6, 0x3ff00000
.LBB31_23:                              ;   in Loop: Header=BB31_4 Depth=1
	ds_store_b128 v13, v[5:8]
.LBB31_24:                              ;   in Loop: Header=BB31_4 Depth=1
	s_wait_alu 0xfffe
	s_or_b32 exec_lo, exec_lo, s26
	v_mov_b32_e32 v5, v18
	s_mov_b32 s1, 0
	s_mov_b32 s26, 16
	s_wait_loadcnt_dscnt 0x0
	s_barrier_signal -1
	s_barrier_wait -1
	global_inv scope:SCOPE_SE
	s_branch .LBB31_26
.LBB31_25:                              ;   in Loop: Header=BB31_26 Depth=2
	v_add_nc_u32_e32 v5, s31, v5
	s_add_co_i32 s26, s26, s33
	s_cmp_eq_u32 s1, s14
	s_wait_loadcnt 0x0
	s_barrier_signal -1
	s_barrier_wait -1
	global_inv scope:SCOPE_SE
	s_cbranch_scc1 .LBB31_35
.LBB31_26:                              ;   Parent Loop BB31_4 Depth=1
                                        ; =>  This Loop Header: Depth=2
                                        ;       Child Loop BB31_31 Depth 3
	v_mov_b32_e32 v1, 0
	v_dual_mov_b32 v2, 0 :: v_dual_mov_b32 v3, 0
	v_mov_b32_e32 v4, 0
	s_wait_alu 0xfffe
	s_mul_i32 s27, s1, s14
	s_mov_b32 s34, exec_lo
	v_cmpx_lt_u32_e64 s1, v0
	s_cbranch_execz .LBB31_28
; %bb.27:                               ;   in Loop: Header=BB31_26 Depth=2
	s_wait_alu 0xfffe
	s_lshl_b32 s35, s27, 4
	s_lshl_b32 s36, s1, 4
	s_wait_alu 0xfffe
	v_add_nc_u32_e32 v6, s35, v12
	s_add_co_i32 s36, s36, s35
	s_wait_alu 0xfffe
	v_mov_b32_e32 v1, s36
	ds_load_b128 v[1:4], v1
	ds_load_b128 v[22:25], v6
	s_wait_dscnt 0x0
	v_mul_f64_e32 v[6:7], v[3:4], v[24:25]
	v_mul_f64_e32 v[24:25], v[1:2], v[24:25]
	s_delay_alu instid0(VALU_DEP_2) | instskip(NEXT) | instid1(VALU_DEP_2)
	v_fma_f64 v[1:2], v[1:2], v[22:23], -v[6:7]
	v_fma_f64 v[3:4], v[3:4], v[22:23], v[24:25]
	s_delay_alu instid0(VALU_DEP_2) | instskip(NEXT) | instid1(VALU_DEP_2)
	v_add_f64_e32 v[1:2], 0, v[1:2]
	v_add_f64_e32 v[3:4], 0, v[3:4]
.LBB31_28:                              ;   in Loop: Header=BB31_26 Depth=2
	s_wait_alu 0xfffe
	s_or_b32 exec_lo, exec_lo, s34
	s_add_co_i32 s1, s1, 1
	s_wait_loadcnt 0x0
	s_wait_alu 0xfffe
	s_cmp_ge_i32 s1, s14
	s_barrier_signal -1
	s_barrier_wait -1
	global_inv scope:SCOPE_SE
	s_cbranch_scc1 .LBB31_25
; %bb.29:                               ;   in Loop: Header=BB31_26 Depth=2
	v_lshl_add_u32 v6, s27, 4, v12
	v_mov_b32_e32 v7, v5
	s_mov_b32 s27, s26
	s_mov_b32 s34, s1
	s_branch .LBB31_31
.LBB31_30:                              ;   in Loop: Header=BB31_31 Depth=3
	s_wait_alu 0xfffe
	s_or_b32 exec_lo, exec_lo, s35
	v_add_nc_u32_e32 v7, s31, v7
	s_add_co_i32 s34, s34, 1
	s_add_co_i32 s27, s27, 16
	s_wait_alu 0xfffe
	s_cmp_eq_u32 s14, s34
	s_wait_loadcnt 0x0
	s_barrier_signal -1
	s_barrier_wait -1
	global_inv scope:SCOPE_SE
	s_cbranch_scc1 .LBB31_25
.LBB31_31:                              ;   Parent Loop BB31_4 Depth=1
                                        ;     Parent Loop BB31_26 Depth=2
                                        ; =>    This Inner Loop Header: Depth=3
	s_mov_b32 s35, exec_lo
	s_wait_alu 0xfffe
	v_cmpx_eq_u32_e64 s34, v0
	s_cbranch_execz .LBB31_33
; %bb.32:                               ;   in Loop: Header=BB31_31 Depth=3
	ds_load_b128 v[22:25], v13
	v_add_f64_e64 v[26:27], -v[1:2], 0
	s_wait_dscnt 0x0
	v_mul_f64_e32 v[28:29], v[3:4], v[24:25]
	v_mul_f64_e32 v[30:31], v[3:4], v[22:23]
	s_delay_alu instid0(VALU_DEP_2) | instskip(NEXT) | instid1(VALU_DEP_2)
	v_fma_f64 v[22:23], v[26:27], v[22:23], v[28:29]
	v_fma_f64 v[24:25], v[26:27], v[24:25], -v[30:31]
	ds_store_b128 v6, v[22:25]
.LBB31_33:                              ;   in Loop: Header=BB31_31 Depth=3
	s_or_b32 exec_lo, exec_lo, s35
	s_delay_alu instid0(SALU_CYCLE_1)
	s_mov_b32 s35, exec_lo
	s_wait_loadcnt_dscnt 0x0
	s_barrier_signal -1
	s_barrier_wait -1
	global_inv scope:SCOPE_SE
	v_cmpx_lt_u32_e64 s34, v0
	s_cbranch_execz .LBB31_30
; %bb.34:                               ;   in Loop: Header=BB31_31 Depth=3
	v_mov_b32_e32 v8, s27
	ds_load_b128 v[22:25], v7
	ds_load_b128 v[26:29], v8
	s_wait_dscnt 0x0
	v_mul_f64_e32 v[30:31], v[28:29], v[24:25]
	v_mul_f64_e32 v[24:25], v[26:27], v[24:25]
	s_delay_alu instid0(VALU_DEP_2) | instskip(NEXT) | instid1(VALU_DEP_2)
	v_fma_f64 v[26:27], v[26:27], v[22:23], -v[30:31]
	v_fma_f64 v[22:23], v[28:29], v[22:23], v[24:25]
	s_delay_alu instid0(VALU_DEP_2) | instskip(NEXT) | instid1(VALU_DEP_2)
	v_add_f64_e32 v[1:2], v[1:2], v[26:27]
	v_add_f64_e32 v[3:4], v[3:4], v[22:23]
	s_branch .LBB31_30
.LBB31_35:                              ;   in Loop: Header=BB31_4 Depth=1
	s_and_saveexec_b32 s26, s0
	s_cbranch_execz .LBB31_2
; %bb.36:                               ;   in Loop: Header=BB31_4 Depth=1
	s_and_not1_b32 vcc_lo, exec_lo, s29
	s_mov_b32 s1, -1
	s_wait_alu 0xfffe
	s_cbranch_vccnz .LBB31_40
; %bb.37:                               ;   in Loop: Header=BB31_4 Depth=1
	v_add_co_u32 v1, vcc_lo, v9, v19
	s_wait_alu 0xfffd
	v_add_co_ci_u32_e64 v2, null, v10, v20, vcc_lo
	v_mov_b32_e32 v3, v14
	s_mov_b32 s27, 0
	s_mov_b32 s34, s14
.LBB31_38:                              ;   Parent Loop BB31_4 Depth=1
                                        ; =>  This Inner Loop Header: Depth=2
	ds_load_2addr_b64 v[4:7], v3 offset1:1
	s_wait_alu 0xfffe
	s_add_co_i32 s34, s34, -1
	v_add_nc_u32_e32 v3, s31, v3
	s_wait_alu 0xfffe
	v_cmp_le_u32_e32 vcc_lo, s34, v0
	s_or_b32 s27, vcc_lo, s27
	s_wait_dscnt 0x0
	flat_store_b128 v[1:2], v[4:7]
	v_add_co_u32 v1, s1, v1, s24
	s_wait_alu 0xf1ff
	v_add_co_ci_u32_e64 v2, null, s25, v2, s1
	s_wait_alu 0xfffe
	s_and_not1_b32 exec_lo, exec_lo, s27
	s_cbranch_execnz .LBB31_38
; %bb.39:                               ;   in Loop: Header=BB31_4 Depth=1
	s_or_b32 exec_lo, exec_lo, s27
	s_mov_b32 s1, 0
.LBB31_40:                              ;   in Loop: Header=BB31_4 Depth=1
	s_wait_alu 0xfffe
	s_and_b32 vcc_lo, exec_lo, s1
	s_wait_alu 0xfffe
	s_cbranch_vccz .LBB31_2
; %bb.41:                               ;   in Loop: Header=BB31_4 Depth=1
	v_add_co_u32 v1, vcc_lo, v9, s16
	s_wait_alu 0xfffd
	v_add_co_ci_u32_e64 v2, null, s17, v10, vcc_lo
	v_dual_mov_b32 v3, v12 :: v_dual_mov_b32 v4, v17
	s_delay_alu instid0(VALU_DEP_3) | instskip(SKIP_1) | instid1(VALU_DEP_3)
	v_add_co_u32 v1, vcc_lo, v1, s20
	s_wait_alu 0xfffd
	v_add_co_ci_u32_e64 v2, null, s21, v2, vcc_lo
	s_mov_b32 s27, 0
	v_add_co_u32 v1, vcc_lo, v1, v21
	s_wait_alu 0xfffd
	v_add_co_ci_u32_e64 v2, null, 0, v2, vcc_lo
.LBB31_42:                              ;   Parent Loop BB31_4 Depth=1
                                        ; =>  This Inner Loop Header: Depth=2
	ds_load_2addr_b64 v[5:8], v3 offset1:1
	v_add_nc_u32_e32 v4, -1, v4
	v_add_nc_u32_e32 v3, s31, v3
	s_delay_alu instid0(VALU_DEP_2)
	v_cmp_eq_u32_e32 vcc_lo, 0, v4
	s_wait_alu 0xfffe
	s_or_b32 s27, vcc_lo, s27
	s_wait_dscnt 0x0
	flat_store_b128 v[1:2], v[5:8]
	v_add_co_u32 v1, s1, v1, s22
	s_wait_alu 0xf1ff
	v_add_co_ci_u32_e64 v2, null, s23, v2, s1
	s_wait_alu 0xfffe
	s_and_not1_b32 exec_lo, exec_lo, s27
	s_cbranch_execnz .LBB31_42
	s_branch .LBB31_2
.LBB31_43:
	s_endpgm
	.section	.rodata,"a",@progbits
	.p2align	6, 0x0
	.amdhsa_kernel _ZL30rocblas_trtri_remainder_kernelILi16E19rocblas_complex_numIdEPKPKS1_PKPS1_Ev13rocblas_fill_17rocblas_diagonal_iT1_lillT2_lilli
		.amdhsa_group_segment_fixed_size 16384
		.amdhsa_private_segment_fixed_size 0
		.amdhsa_kernarg_size 100
		.amdhsa_user_sgpr_count 2
		.amdhsa_user_sgpr_dispatch_ptr 0
		.amdhsa_user_sgpr_queue_ptr 0
		.amdhsa_user_sgpr_kernarg_segment_ptr 1
		.amdhsa_user_sgpr_dispatch_id 0
		.amdhsa_user_sgpr_private_segment_size 0
		.amdhsa_wavefront_size32 1
		.amdhsa_uses_dynamic_stack 0
		.amdhsa_enable_private_segment 0
		.amdhsa_system_sgpr_workgroup_id_x 1
		.amdhsa_system_sgpr_workgroup_id_y 0
		.amdhsa_system_sgpr_workgroup_id_z 1
		.amdhsa_system_sgpr_workgroup_info 0
		.amdhsa_system_vgpr_workitem_id 0
		.amdhsa_next_free_vgpr 32
		.amdhsa_next_free_sgpr 37
		.amdhsa_reserve_vcc 1
		.amdhsa_float_round_mode_32 0
		.amdhsa_float_round_mode_16_64 0
		.amdhsa_float_denorm_mode_32 3
		.amdhsa_float_denorm_mode_16_64 3
		.amdhsa_fp16_overflow 0
		.amdhsa_workgroup_processor_mode 1
		.amdhsa_memory_ordered 1
		.amdhsa_forward_progress 1
		.amdhsa_inst_pref_size 18
		.amdhsa_round_robin_scheduling 0
		.amdhsa_exception_fp_ieee_invalid_op 0
		.amdhsa_exception_fp_denorm_src 0
		.amdhsa_exception_fp_ieee_div_zero 0
		.amdhsa_exception_fp_ieee_overflow 0
		.amdhsa_exception_fp_ieee_underflow 0
		.amdhsa_exception_fp_ieee_inexact 0
		.amdhsa_exception_int_div_zero 0
	.end_amdhsa_kernel
	.section	.text._ZL30rocblas_trtri_remainder_kernelILi16E19rocblas_complex_numIdEPKPKS1_PKPS1_Ev13rocblas_fill_17rocblas_diagonal_iT1_lillT2_lilli,"axG",@progbits,_ZL30rocblas_trtri_remainder_kernelILi16E19rocblas_complex_numIdEPKPKS1_PKPS1_Ev13rocblas_fill_17rocblas_diagonal_iT1_lillT2_lilli,comdat
.Lfunc_end31:
	.size	_ZL30rocblas_trtri_remainder_kernelILi16E19rocblas_complex_numIdEPKPKS1_PKPS1_Ev13rocblas_fill_17rocblas_diagonal_iT1_lillT2_lilli, .Lfunc_end31-_ZL30rocblas_trtri_remainder_kernelILi16E19rocblas_complex_numIdEPKPKS1_PKPS1_Ev13rocblas_fill_17rocblas_diagonal_iT1_lillT2_lilli
                                        ; -- End function
	.set _ZL30rocblas_trtri_remainder_kernelILi16E19rocblas_complex_numIdEPKPKS1_PKPS1_Ev13rocblas_fill_17rocblas_diagonal_iT1_lillT2_lilli.num_vgpr, 32
	.set _ZL30rocblas_trtri_remainder_kernelILi16E19rocblas_complex_numIdEPKPKS1_PKPS1_Ev13rocblas_fill_17rocblas_diagonal_iT1_lillT2_lilli.num_agpr, 0
	.set _ZL30rocblas_trtri_remainder_kernelILi16E19rocblas_complex_numIdEPKPKS1_PKPS1_Ev13rocblas_fill_17rocblas_diagonal_iT1_lillT2_lilli.numbered_sgpr, 37
	.set _ZL30rocblas_trtri_remainder_kernelILi16E19rocblas_complex_numIdEPKPKS1_PKPS1_Ev13rocblas_fill_17rocblas_diagonal_iT1_lillT2_lilli.num_named_barrier, 0
	.set _ZL30rocblas_trtri_remainder_kernelILi16E19rocblas_complex_numIdEPKPKS1_PKPS1_Ev13rocblas_fill_17rocblas_diagonal_iT1_lillT2_lilli.private_seg_size, 0
	.set _ZL30rocblas_trtri_remainder_kernelILi16E19rocblas_complex_numIdEPKPKS1_PKPS1_Ev13rocblas_fill_17rocblas_diagonal_iT1_lillT2_lilli.uses_vcc, 1
	.set _ZL30rocblas_trtri_remainder_kernelILi16E19rocblas_complex_numIdEPKPKS1_PKPS1_Ev13rocblas_fill_17rocblas_diagonal_iT1_lillT2_lilli.uses_flat_scratch, 0
	.set _ZL30rocblas_trtri_remainder_kernelILi16E19rocblas_complex_numIdEPKPKS1_PKPS1_Ev13rocblas_fill_17rocblas_diagonal_iT1_lillT2_lilli.has_dyn_sized_stack, 0
	.set _ZL30rocblas_trtri_remainder_kernelILi16E19rocblas_complex_numIdEPKPKS1_PKPS1_Ev13rocblas_fill_17rocblas_diagonal_iT1_lillT2_lilli.has_recursion, 0
	.set _ZL30rocblas_trtri_remainder_kernelILi16E19rocblas_complex_numIdEPKPKS1_PKPS1_Ev13rocblas_fill_17rocblas_diagonal_iT1_lillT2_lilli.has_indirect_call, 0
	.section	.AMDGPU.csdata,"",@progbits
; Kernel info:
; codeLenInByte = 2252
; TotalNumSgprs: 39
; NumVgprs: 32
; ScratchSize: 0
; MemoryBound: 0
; FloatMode: 240
; IeeeMode: 1
; LDSByteSize: 16384 bytes/workgroup (compile time only)
; SGPRBlocks: 0
; VGPRBlocks: 3
; NumSGPRsForWavesPerEU: 39
; NumVGPRsForWavesPerEU: 32
; Occupancy: 16
; WaveLimiterHint : 0
; COMPUTE_PGM_RSRC2:SCRATCH_EN: 0
; COMPUTE_PGM_RSRC2:USER_SGPR: 2
; COMPUTE_PGM_RSRC2:TRAP_HANDLER: 0
; COMPUTE_PGM_RSRC2:TGID_X_EN: 1
; COMPUTE_PGM_RSRC2:TGID_Y_EN: 0
; COMPUTE_PGM_RSRC2:TGID_Z_EN: 1
; COMPUTE_PGM_RSRC2:TIDIG_COMP_CNT: 0
	.section	.AMDGPU.gpr_maximums,"",@progbits
	.set amdgpu.max_num_vgpr, 0
	.set amdgpu.max_num_agpr, 0
	.set amdgpu.max_num_sgpr, 0
	.section	.AMDGPU.csdata,"",@progbits
	.type	__hip_cuid_b0aa47442c062097,@object ; @__hip_cuid_b0aa47442c062097
	.section	.bss,"aw",@nobits
	.globl	__hip_cuid_b0aa47442c062097
__hip_cuid_b0aa47442c062097:
	.byte	0                               ; 0x0
	.size	__hip_cuid_b0aa47442c062097, 1

	.ident	"AMD clang version 22.0.0git (https://github.com/RadeonOpenCompute/llvm-project roc-7.2.4 26084 f58b06dce1f9c15707c5f808fd002e18c2accf7e)"
	.section	".note.GNU-stack","",@progbits
	.addrsig
	.addrsig_sym __hip_cuid_b0aa47442c062097
	.amdgpu_metadata
---
amdhsa.kernels:
  - .args:
      - .address_space:  global
        .offset:         0
        .size:           8
        .value_kind:     global_buffer
      - .offset:         8
        .size:           4
        .value_kind:     by_value
      - .offset:         12
        .size:           4
        .value_kind:     by_value
      - .offset:         16
        .size:           8
        .value_kind:     by_value
      - .offset:         24
        .size:           4
        .value_kind:     by_value
      - .offset:         32
        .size:           8
        .value_kind:     by_value
      - .address_space:  global
        .offset:         40
        .size:           8
        .value_kind:     global_buffer
      - .offset:         48
        .size:           8
        .value_kind:     by_value
      - .offset:         56
        .size:           8
        .value_kind:     by_value
      - .offset:         64
        .size:           4
        .value_kind:     by_value
      - .offset:         68
        .size:           4
        .value_kind:     by_value
      - .offset:         72
        .size:           4
        .value_kind:     hidden_block_count_x
      - .offset:         76
        .size:           4
        .value_kind:     hidden_block_count_y
      - .offset:         80
        .size:           4
        .value_kind:     hidden_block_count_z
      - .offset:         84
        .size:           2
        .value_kind:     hidden_group_size_x
      - .offset:         86
        .size:           2
        .value_kind:     hidden_group_size_y
      - .offset:         88
        .size:           2
        .value_kind:     hidden_group_size_z
      - .offset:         90
        .size:           2
        .value_kind:     hidden_remainder_x
      - .offset:         92
        .size:           2
        .value_kind:     hidden_remainder_y
      - .offset:         94
        .size:           2
        .value_kind:     hidden_remainder_z
      - .offset:         112
        .size:           8
        .value_kind:     hidden_global_offset_x
      - .offset:         120
        .size:           8
        .value_kind:     hidden_global_offset_y
      - .offset:         128
        .size:           8
        .value_kind:     hidden_global_offset_z
      - .offset:         136
        .size:           2
        .value_kind:     hidden_grid_dims
    .group_segment_fixed_size: 0
    .kernarg_segment_align: 8
    .kernarg_segment_size: 328
    .language:       OpenCL C
    .language_version:
      - 2
      - 0
    .max_flat_workgroup_size: 128
    .name:           _ZL18rocblas_trtri_fillILi128EfPfEvP15_rocblas_handle13rocblas_fill_ililT1_llii
    .private_segment_fixed_size: 0
    .sgpr_count:     49
    .sgpr_spill_count: 0
    .symbol:         _ZL18rocblas_trtri_fillILi128EfPfEvP15_rocblas_handle13rocblas_fill_ililT1_llii.kd
    .uniform_work_group_size: 1
    .uses_dynamic_stack: false
    .vgpr_count:     26
    .vgpr_spill_count: 0
    .wavefront_size: 32
    .workgroup_processor_mode: 1
  - .args:
      - .offset:         0
        .size:           4
        .value_kind:     by_value
      - .offset:         4
        .size:           4
        .value_kind:     by_value
      - .offset:         8
        .size:           4
        .value_kind:     by_value
      - .address_space:  global
        .offset:         16
        .size:           8
        .value_kind:     global_buffer
      - .offset:         24
        .size:           8
        .value_kind:     by_value
      - .offset:         32
        .size:           4
        .value_kind:     by_value
      - .offset:         40
        .size:           8
        .value_kind:     by_value
      - .offset:         48
        .size:           8
        .value_kind:     by_value
      - .address_space:  global
        .offset:         56
        .size:           8
        .value_kind:     global_buffer
      - .offset:         64
        .size:           8
        .value_kind:     by_value
      - .offset:         72
        .size:           4
        .value_kind:     by_value
      - .offset:         80
        .size:           8
        .value_kind:     by_value
      - .offset:         88
        .size:           8
        .value_kind:     by_value
      - .offset:         96
        .size:           4
        .value_kind:     by_value
    .group_segment_fixed_size: 1024
    .kernarg_segment_align: 8
    .kernarg_segment_size: 100
    .language:       OpenCL C
    .language_version:
      - 2
      - 0
    .max_flat_workgroup_size: 16
    .name:           _ZL26rocblas_trtri_small_kernelILi16EfPKfPfEv13rocblas_fill_17rocblas_diagonal_iT1_lillT2_lilli
    .private_segment_fixed_size: 0
    .sgpr_count:     42
    .sgpr_spill_count: 0
    .symbol:         _ZL26rocblas_trtri_small_kernelILi16EfPKfPfEv13rocblas_fill_17rocblas_diagonal_iT1_lillT2_lilli.kd
    .uniform_work_group_size: 1
    .uses_dynamic_stack: false
    .vgpr_count:     20
    .vgpr_spill_count: 0
    .wavefront_size: 32
    .workgroup_processor_mode: 1
  - .args:
      - .offset:         0
        .size:           4
        .value_kind:     by_value
      - .offset:         4
        .size:           4
        .value_kind:     by_value
      - .offset:         8
        .size:           4
        .value_kind:     by_value
      - .address_space:  global
        .offset:         16
        .size:           8
        .value_kind:     global_buffer
      - .offset:         24
        .size:           8
        .value_kind:     by_value
      - .offset:         32
        .size:           4
        .value_kind:     by_value
      - .offset:         40
        .size:           8
        .value_kind:     by_value
      - .offset:         48
        .size:           8
        .value_kind:     by_value
      - .address_space:  global
        .offset:         56
        .size:           8
        .value_kind:     global_buffer
      - .offset:         64
        .size:           8
        .value_kind:     by_value
      - .offset:         72
        .size:           4
        .value_kind:     by_value
      - .offset:         80
        .size:           8
        .value_kind:     by_value
      - .offset:         88
        .size:           8
        .value_kind:     by_value
      - .offset:         96
        .size:           4
        .value_kind:     by_value
    .group_segment_fixed_size: 4096
    .kernarg_segment_align: 8
    .kernarg_segment_size: 100
    .language:       OpenCL C
    .language_version:
      - 2
      - 0
    .max_flat_workgroup_size: 256
    .name:           _ZL29rocblas_trtri_diagonal_kernelILi16EfPKfPfEv13rocblas_fill_17rocblas_diagonal_iT1_lillT2_lilli
    .private_segment_fixed_size: 0
    .sgpr_count:     55
    .sgpr_spill_count: 0
    .symbol:         _ZL29rocblas_trtri_diagonal_kernelILi16EfPKfPfEv13rocblas_fill_17rocblas_diagonal_iT1_lillT2_lilli.kd
    .uniform_work_group_size: 1
    .uses_dynamic_stack: false
    .vgpr_count:     46
    .vgpr_spill_count: 0
    .wavefront_size: 32
    .workgroup_processor_mode: 1
  - .args:
      - .offset:         0
        .size:           4
        .value_kind:     by_value
      - .offset:         4
        .size:           4
        .value_kind:     by_value
      - .offset:         8
        .size:           4
        .value_kind:     by_value
      - .address_space:  global
        .offset:         16
        .size:           8
        .value_kind:     global_buffer
      - .offset:         24
        .size:           8
        .value_kind:     by_value
      - .offset:         32
        .size:           4
        .value_kind:     by_value
      - .offset:         40
        .size:           8
        .value_kind:     by_value
      - .offset:         48
        .size:           8
        .value_kind:     by_value
      - .address_space:  global
        .offset:         56
        .size:           8
        .value_kind:     global_buffer
      - .offset:         64
        .size:           8
        .value_kind:     by_value
      - .offset:         72
        .size:           4
        .value_kind:     by_value
      - .offset:         80
        .size:           8
        .value_kind:     by_value
      - .offset:         88
        .size:           8
        .value_kind:     by_value
      - .offset:         96
        .size:           4
        .value_kind:     by_value
    .group_segment_fixed_size: 4096
    .kernarg_segment_align: 8
    .kernarg_segment_size: 100
    .language:       OpenCL C
    .language_version:
      - 2
      - 0
    .max_flat_workgroup_size: 1024
    .name:           _ZL30rocblas_trtri_remainder_kernelILi16EfPKfPfEv13rocblas_fill_17rocblas_diagonal_iT1_lillT2_lilli
    .private_segment_fixed_size: 0
    .sgpr_count:     42
    .sgpr_spill_count: 0
    .symbol:         _ZL30rocblas_trtri_remainder_kernelILi16EfPKfPfEv13rocblas_fill_17rocblas_diagonal_iT1_lillT2_lilli.kd
    .uniform_work_group_size: 1
    .uses_dynamic_stack: false
    .vgpr_count:     20
    .vgpr_spill_count: 0
    .wavefront_size: 32
    .workgroup_processor_mode: 1
  - .args:
      - .address_space:  global
        .offset:         0
        .size:           8
        .value_kind:     global_buffer
      - .offset:         8
        .size:           4
        .value_kind:     by_value
      - .offset:         12
        .size:           4
        .value_kind:     by_value
      - .offset:         16
        .size:           8
        .value_kind:     by_value
      - .offset:         24
        .size:           4
        .value_kind:     by_value
      - .offset:         32
        .size:           8
        .value_kind:     by_value
      - .address_space:  global
        .offset:         40
        .size:           8
        .value_kind:     global_buffer
      - .offset:         48
        .size:           8
        .value_kind:     by_value
      - .offset:         56
        .size:           8
        .value_kind:     by_value
      - .offset:         64
        .size:           4
        .value_kind:     by_value
      - .offset:         68
        .size:           4
        .value_kind:     by_value
      - .offset:         72
        .size:           4
        .value_kind:     hidden_block_count_x
      - .offset:         76
        .size:           4
        .value_kind:     hidden_block_count_y
      - .offset:         80
        .size:           4
        .value_kind:     hidden_block_count_z
      - .offset:         84
        .size:           2
        .value_kind:     hidden_group_size_x
      - .offset:         86
        .size:           2
        .value_kind:     hidden_group_size_y
      - .offset:         88
        .size:           2
        .value_kind:     hidden_group_size_z
      - .offset:         90
        .size:           2
        .value_kind:     hidden_remainder_x
      - .offset:         92
        .size:           2
        .value_kind:     hidden_remainder_y
      - .offset:         94
        .size:           2
        .value_kind:     hidden_remainder_z
      - .offset:         112
        .size:           8
        .value_kind:     hidden_global_offset_x
      - .offset:         120
        .size:           8
        .value_kind:     hidden_global_offset_y
      - .offset:         128
        .size:           8
        .value_kind:     hidden_global_offset_z
      - .offset:         136
        .size:           2
        .value_kind:     hidden_grid_dims
    .group_segment_fixed_size: 0
    .kernarg_segment_align: 8
    .kernarg_segment_size: 328
    .language:       OpenCL C
    .language_version:
      - 2
      - 0
    .max_flat_workgroup_size: 128
    .name:           _ZL18rocblas_trtri_fillILi128EdPdEvP15_rocblas_handle13rocblas_fill_ililT1_llii
    .private_segment_fixed_size: 0
    .sgpr_count:     49
    .sgpr_spill_count: 0
    .symbol:         _ZL18rocblas_trtri_fillILi128EdPdEvP15_rocblas_handle13rocblas_fill_ililT1_llii.kd
    .uniform_work_group_size: 1
    .uses_dynamic_stack: false
    .vgpr_count:     26
    .vgpr_spill_count: 0
    .wavefront_size: 32
    .workgroup_processor_mode: 1
  - .args:
      - .offset:         0
        .size:           4
        .value_kind:     by_value
      - .offset:         4
        .size:           4
        .value_kind:     by_value
      - .offset:         8
        .size:           4
        .value_kind:     by_value
      - .address_space:  global
        .offset:         16
        .size:           8
        .value_kind:     global_buffer
      - .offset:         24
        .size:           8
        .value_kind:     by_value
      - .offset:         32
        .size:           4
        .value_kind:     by_value
      - .offset:         40
        .size:           8
        .value_kind:     by_value
      - .offset:         48
        .size:           8
        .value_kind:     by_value
      - .address_space:  global
        .offset:         56
        .size:           8
        .value_kind:     global_buffer
      - .offset:         64
        .size:           8
        .value_kind:     by_value
      - .offset:         72
        .size:           4
        .value_kind:     by_value
      - .offset:         80
        .size:           8
        .value_kind:     by_value
      - .offset:         88
        .size:           8
        .value_kind:     by_value
      - .offset:         96
        .size:           4
        .value_kind:     by_value
    .group_segment_fixed_size: 2048
    .kernarg_segment_align: 8
    .kernarg_segment_size: 100
    .language:       OpenCL C
    .language_version:
      - 2
      - 0
    .max_flat_workgroup_size: 16
    .name:           _ZL26rocblas_trtri_small_kernelILi16EdPKdPdEv13rocblas_fill_17rocblas_diagonal_iT1_lillT2_lilli
    .private_segment_fixed_size: 0
    .sgpr_count:     42
    .sgpr_spill_count: 0
    .symbol:         _ZL26rocblas_trtri_small_kernelILi16EdPKdPdEv13rocblas_fill_17rocblas_diagonal_iT1_lillT2_lilli.kd
    .uniform_work_group_size: 1
    .uses_dynamic_stack: false
    .vgpr_count:     24
    .vgpr_spill_count: 0
    .wavefront_size: 32
    .workgroup_processor_mode: 1
  - .args:
      - .offset:         0
        .size:           4
        .value_kind:     by_value
      - .offset:         4
        .size:           4
        .value_kind:     by_value
      - .offset:         8
        .size:           4
        .value_kind:     by_value
      - .address_space:  global
        .offset:         16
        .size:           8
        .value_kind:     global_buffer
      - .offset:         24
        .size:           8
        .value_kind:     by_value
      - .offset:         32
        .size:           4
        .value_kind:     by_value
      - .offset:         40
        .size:           8
        .value_kind:     by_value
      - .offset:         48
        .size:           8
        .value_kind:     by_value
      - .address_space:  global
        .offset:         56
        .size:           8
        .value_kind:     global_buffer
      - .offset:         64
        .size:           8
        .value_kind:     by_value
      - .offset:         72
        .size:           4
        .value_kind:     by_value
      - .offset:         80
        .size:           8
        .value_kind:     by_value
      - .offset:         88
        .size:           8
        .value_kind:     by_value
      - .offset:         96
        .size:           4
        .value_kind:     by_value
    .group_segment_fixed_size: 8192
    .kernarg_segment_align: 8
    .kernarg_segment_size: 100
    .language:       OpenCL C
    .language_version:
      - 2
      - 0
    .max_flat_workgroup_size: 256
    .name:           _ZL29rocblas_trtri_diagonal_kernelILi16EdPKdPdEv13rocblas_fill_17rocblas_diagonal_iT1_lillT2_lilli
    .private_segment_fixed_size: 0
    .sgpr_count:     55
    .sgpr_spill_count: 0
    .symbol:         _ZL29rocblas_trtri_diagonal_kernelILi16EdPKdPdEv13rocblas_fill_17rocblas_diagonal_iT1_lillT2_lilli.kd
    .uniform_work_group_size: 1
    .uses_dynamic_stack: false
    .vgpr_count:     49
    .vgpr_spill_count: 0
    .wavefront_size: 32
    .workgroup_processor_mode: 1
  - .args:
      - .offset:         0
        .size:           4
        .value_kind:     by_value
      - .offset:         4
        .size:           4
        .value_kind:     by_value
      - .offset:         8
        .size:           4
        .value_kind:     by_value
      - .address_space:  global
        .offset:         16
        .size:           8
        .value_kind:     global_buffer
      - .offset:         24
        .size:           8
        .value_kind:     by_value
      - .offset:         32
        .size:           4
        .value_kind:     by_value
      - .offset:         40
        .size:           8
        .value_kind:     by_value
      - .offset:         48
        .size:           8
        .value_kind:     by_value
      - .address_space:  global
        .offset:         56
        .size:           8
        .value_kind:     global_buffer
      - .offset:         64
        .size:           8
        .value_kind:     by_value
      - .offset:         72
        .size:           4
        .value_kind:     by_value
      - .offset:         80
        .size:           8
        .value_kind:     by_value
      - .offset:         88
        .size:           8
        .value_kind:     by_value
      - .offset:         96
        .size:           4
        .value_kind:     by_value
    .group_segment_fixed_size: 8192
    .kernarg_segment_align: 8
    .kernarg_segment_size: 100
    .language:       OpenCL C
    .language_version:
      - 2
      - 0
    .max_flat_workgroup_size: 1024
    .name:           _ZL30rocblas_trtri_remainder_kernelILi16EdPKdPdEv13rocblas_fill_17rocblas_diagonal_iT1_lillT2_lilli
    .private_segment_fixed_size: 0
    .sgpr_count:     42
    .sgpr_spill_count: 0
    .symbol:         _ZL30rocblas_trtri_remainder_kernelILi16EdPKdPdEv13rocblas_fill_17rocblas_diagonal_iT1_lillT2_lilli.kd
    .uniform_work_group_size: 1
    .uses_dynamic_stack: false
    .vgpr_count:     24
    .vgpr_spill_count: 0
    .wavefront_size: 32
    .workgroup_processor_mode: 1
  - .args:
      - .address_space:  global
        .offset:         0
        .size:           8
        .value_kind:     global_buffer
      - .offset:         8
        .size:           4
        .value_kind:     by_value
      - .offset:         12
        .size:           4
        .value_kind:     by_value
      - .offset:         16
        .size:           8
        .value_kind:     by_value
      - .offset:         24
        .size:           4
        .value_kind:     by_value
      - .offset:         32
        .size:           8
        .value_kind:     by_value
      - .address_space:  global
        .offset:         40
        .size:           8
        .value_kind:     global_buffer
      - .offset:         48
        .size:           8
        .value_kind:     by_value
      - .offset:         56
        .size:           8
        .value_kind:     by_value
      - .offset:         64
        .size:           4
        .value_kind:     by_value
      - .offset:         68
        .size:           4
        .value_kind:     by_value
      - .offset:         72
        .size:           4
        .value_kind:     hidden_block_count_x
      - .offset:         76
        .size:           4
        .value_kind:     hidden_block_count_y
      - .offset:         80
        .size:           4
        .value_kind:     hidden_block_count_z
      - .offset:         84
        .size:           2
        .value_kind:     hidden_group_size_x
      - .offset:         86
        .size:           2
        .value_kind:     hidden_group_size_y
      - .offset:         88
        .size:           2
        .value_kind:     hidden_group_size_z
      - .offset:         90
        .size:           2
        .value_kind:     hidden_remainder_x
      - .offset:         92
        .size:           2
        .value_kind:     hidden_remainder_y
      - .offset:         94
        .size:           2
        .value_kind:     hidden_remainder_z
      - .offset:         112
        .size:           8
        .value_kind:     hidden_global_offset_x
      - .offset:         120
        .size:           8
        .value_kind:     hidden_global_offset_y
      - .offset:         128
        .size:           8
        .value_kind:     hidden_global_offset_z
      - .offset:         136
        .size:           2
        .value_kind:     hidden_grid_dims
    .group_segment_fixed_size: 0
    .kernarg_segment_align: 8
    .kernarg_segment_size: 328
    .language:       OpenCL C
    .language_version:
      - 2
      - 0
    .max_flat_workgroup_size: 128
    .name:           _ZL18rocblas_trtri_fillILi128E19rocblas_complex_numIfEPS1_EvP15_rocblas_handle13rocblas_fill_ililT1_llii
    .private_segment_fixed_size: 0
    .sgpr_count:     49
    .sgpr_spill_count: 0
    .symbol:         _ZL18rocblas_trtri_fillILi128E19rocblas_complex_numIfEPS1_EvP15_rocblas_handle13rocblas_fill_ililT1_llii.kd
    .uniform_work_group_size: 1
    .uses_dynamic_stack: false
    .vgpr_count:     26
    .vgpr_spill_count: 0
    .wavefront_size: 32
    .workgroup_processor_mode: 1
  - .args:
      - .offset:         0
        .size:           4
        .value_kind:     by_value
      - .offset:         4
        .size:           4
        .value_kind:     by_value
      - .offset:         8
        .size:           4
        .value_kind:     by_value
      - .address_space:  global
        .offset:         16
        .size:           8
        .value_kind:     global_buffer
      - .offset:         24
        .size:           8
        .value_kind:     by_value
      - .offset:         32
        .size:           4
        .value_kind:     by_value
      - .offset:         40
        .size:           8
        .value_kind:     by_value
      - .offset:         48
        .size:           8
        .value_kind:     by_value
      - .address_space:  global
        .offset:         56
        .size:           8
        .value_kind:     global_buffer
      - .offset:         64
        .size:           8
        .value_kind:     by_value
      - .offset:         72
        .size:           4
        .value_kind:     by_value
      - .offset:         80
        .size:           8
        .value_kind:     by_value
      - .offset:         88
        .size:           8
        .value_kind:     by_value
      - .offset:         96
        .size:           4
        .value_kind:     by_value
    .group_segment_fixed_size: 2048
    .kernarg_segment_align: 8
    .kernarg_segment_size: 100
    .language:       OpenCL C
    .language_version:
      - 2
      - 0
    .max_flat_workgroup_size: 16
    .name:           _ZL26rocblas_trtri_small_kernelILi16E19rocblas_complex_numIfEPKS1_PS1_Ev13rocblas_fill_17rocblas_diagonal_iT1_lillT2_lilli
    .private_segment_fixed_size: 0
    .sgpr_count:     42
    .sgpr_spill_count: 0
    .symbol:         _ZL26rocblas_trtri_small_kernelILi16E19rocblas_complex_numIfEPKS1_PS1_Ev13rocblas_fill_17rocblas_diagonal_iT1_lillT2_lilli.kd
    .uniform_work_group_size: 1
    .uses_dynamic_stack: false
    .vgpr_count:     26
    .vgpr_spill_count: 0
    .wavefront_size: 32
    .workgroup_processor_mode: 1
  - .args:
      - .offset:         0
        .size:           4
        .value_kind:     by_value
      - .offset:         4
        .size:           4
        .value_kind:     by_value
      - .offset:         8
        .size:           4
        .value_kind:     by_value
      - .address_space:  global
        .offset:         16
        .size:           8
        .value_kind:     global_buffer
      - .offset:         24
        .size:           8
        .value_kind:     by_value
      - .offset:         32
        .size:           4
        .value_kind:     by_value
      - .offset:         40
        .size:           8
        .value_kind:     by_value
      - .offset:         48
        .size:           8
        .value_kind:     by_value
      - .address_space:  global
        .offset:         56
        .size:           8
        .value_kind:     global_buffer
      - .offset:         64
        .size:           8
        .value_kind:     by_value
      - .offset:         72
        .size:           4
        .value_kind:     by_value
      - .offset:         80
        .size:           8
        .value_kind:     by_value
      - .offset:         88
        .size:           8
        .value_kind:     by_value
      - .offset:         96
        .size:           4
        .value_kind:     by_value
    .group_segment_fixed_size: 8192
    .kernarg_segment_align: 8
    .kernarg_segment_size: 100
    .language:       OpenCL C
    .language_version:
      - 2
      - 0
    .max_flat_workgroup_size: 256
    .name:           _ZL29rocblas_trtri_diagonal_kernelILi16E19rocblas_complex_numIfEPKS1_PS1_Ev13rocblas_fill_17rocblas_diagonal_iT1_lillT2_lilli
    .private_segment_fixed_size: 0
    .sgpr_count:     55
    .sgpr_spill_count: 0
    .symbol:         _ZL29rocblas_trtri_diagonal_kernelILi16E19rocblas_complex_numIfEPKS1_PS1_Ev13rocblas_fill_17rocblas_diagonal_iT1_lillT2_lilli.kd
    .uniform_work_group_size: 1
    .uses_dynamic_stack: false
    .vgpr_count:     52
    .vgpr_spill_count: 0
    .wavefront_size: 32
    .workgroup_processor_mode: 1
  - .args:
      - .offset:         0
        .size:           4
        .value_kind:     by_value
      - .offset:         4
        .size:           4
        .value_kind:     by_value
      - .offset:         8
        .size:           4
        .value_kind:     by_value
      - .address_space:  global
        .offset:         16
        .size:           8
        .value_kind:     global_buffer
      - .offset:         24
        .size:           8
        .value_kind:     by_value
      - .offset:         32
        .size:           4
        .value_kind:     by_value
      - .offset:         40
        .size:           8
        .value_kind:     by_value
      - .offset:         48
        .size:           8
        .value_kind:     by_value
      - .address_space:  global
        .offset:         56
        .size:           8
        .value_kind:     global_buffer
      - .offset:         64
        .size:           8
        .value_kind:     by_value
      - .offset:         72
        .size:           4
        .value_kind:     by_value
      - .offset:         80
        .size:           8
        .value_kind:     by_value
      - .offset:         88
        .size:           8
        .value_kind:     by_value
      - .offset:         96
        .size:           4
        .value_kind:     by_value
    .group_segment_fixed_size: 8192
    .kernarg_segment_align: 8
    .kernarg_segment_size: 100
    .language:       OpenCL C
    .language_version:
      - 2
      - 0
    .max_flat_workgroup_size: 1024
    .name:           _ZL30rocblas_trtri_remainder_kernelILi16E19rocblas_complex_numIfEPKS1_PS1_Ev13rocblas_fill_17rocblas_diagonal_iT1_lillT2_lilli
    .private_segment_fixed_size: 0
    .sgpr_count:     42
    .sgpr_spill_count: 0
    .symbol:         _ZL30rocblas_trtri_remainder_kernelILi16E19rocblas_complex_numIfEPKS1_PS1_Ev13rocblas_fill_17rocblas_diagonal_iT1_lillT2_lilli.kd
    .uniform_work_group_size: 1
    .uses_dynamic_stack: false
    .vgpr_count:     26
    .vgpr_spill_count: 0
    .wavefront_size: 32
    .workgroup_processor_mode: 1
  - .args:
      - .address_space:  global
        .offset:         0
        .size:           8
        .value_kind:     global_buffer
      - .offset:         8
        .size:           4
        .value_kind:     by_value
      - .offset:         12
        .size:           4
        .value_kind:     by_value
      - .offset:         16
        .size:           8
        .value_kind:     by_value
      - .offset:         24
        .size:           4
        .value_kind:     by_value
      - .offset:         32
        .size:           8
        .value_kind:     by_value
      - .address_space:  global
        .offset:         40
        .size:           8
        .value_kind:     global_buffer
      - .offset:         48
        .size:           8
        .value_kind:     by_value
      - .offset:         56
        .size:           8
        .value_kind:     by_value
      - .offset:         64
        .size:           4
        .value_kind:     by_value
      - .offset:         68
        .size:           4
        .value_kind:     by_value
      - .offset:         72
        .size:           4
        .value_kind:     hidden_block_count_x
      - .offset:         76
        .size:           4
        .value_kind:     hidden_block_count_y
      - .offset:         80
        .size:           4
        .value_kind:     hidden_block_count_z
      - .offset:         84
        .size:           2
        .value_kind:     hidden_group_size_x
      - .offset:         86
        .size:           2
        .value_kind:     hidden_group_size_y
      - .offset:         88
        .size:           2
        .value_kind:     hidden_group_size_z
      - .offset:         90
        .size:           2
        .value_kind:     hidden_remainder_x
      - .offset:         92
        .size:           2
        .value_kind:     hidden_remainder_y
      - .offset:         94
        .size:           2
        .value_kind:     hidden_remainder_z
      - .offset:         112
        .size:           8
        .value_kind:     hidden_global_offset_x
      - .offset:         120
        .size:           8
        .value_kind:     hidden_global_offset_y
      - .offset:         128
        .size:           8
        .value_kind:     hidden_global_offset_z
      - .offset:         136
        .size:           2
        .value_kind:     hidden_grid_dims
    .group_segment_fixed_size: 0
    .kernarg_segment_align: 8
    .kernarg_segment_size: 328
    .language:       OpenCL C
    .language_version:
      - 2
      - 0
    .max_flat_workgroup_size: 128
    .name:           _ZL18rocblas_trtri_fillILi128E19rocblas_complex_numIdEPS1_EvP15_rocblas_handle13rocblas_fill_ililT1_llii
    .private_segment_fixed_size: 0
    .sgpr_count:     49
    .sgpr_spill_count: 0
    .symbol:         _ZL18rocblas_trtri_fillILi128E19rocblas_complex_numIdEPS1_EvP15_rocblas_handle13rocblas_fill_ililT1_llii.kd
    .uniform_work_group_size: 1
    .uses_dynamic_stack: false
    .vgpr_count:     26
    .vgpr_spill_count: 0
    .wavefront_size: 32
    .workgroup_processor_mode: 1
  - .args:
      - .offset:         0
        .size:           4
        .value_kind:     by_value
      - .offset:         4
        .size:           4
        .value_kind:     by_value
      - .offset:         8
        .size:           4
        .value_kind:     by_value
      - .address_space:  global
        .offset:         16
        .size:           8
        .value_kind:     global_buffer
      - .offset:         24
        .size:           8
        .value_kind:     by_value
      - .offset:         32
        .size:           4
        .value_kind:     by_value
      - .offset:         40
        .size:           8
        .value_kind:     by_value
      - .offset:         48
        .size:           8
        .value_kind:     by_value
      - .address_space:  global
        .offset:         56
        .size:           8
        .value_kind:     global_buffer
      - .offset:         64
        .size:           8
        .value_kind:     by_value
      - .offset:         72
        .size:           4
        .value_kind:     by_value
      - .offset:         80
        .size:           8
        .value_kind:     by_value
      - .offset:         88
        .size:           8
        .value_kind:     by_value
      - .offset:         96
        .size:           4
        .value_kind:     by_value
    .group_segment_fixed_size: 4096
    .kernarg_segment_align: 8
    .kernarg_segment_size: 100
    .language:       OpenCL C
    .language_version:
      - 2
      - 0
    .max_flat_workgroup_size: 16
    .name:           _ZL26rocblas_trtri_small_kernelILi16E19rocblas_complex_numIdEPKS1_PS1_Ev13rocblas_fill_17rocblas_diagonal_iT1_lillT2_lilli
    .private_segment_fixed_size: 0
    .sgpr_count:     42
    .sgpr_spill_count: 0
    .symbol:         _ZL26rocblas_trtri_small_kernelILi16E19rocblas_complex_numIdEPKS1_PS1_Ev13rocblas_fill_17rocblas_diagonal_iT1_lillT2_lilli.kd
    .uniform_work_group_size: 1
    .uses_dynamic_stack: false
    .vgpr_count:     32
    .vgpr_spill_count: 0
    .wavefront_size: 32
    .workgroup_processor_mode: 1
  - .args:
      - .offset:         0
        .size:           4
        .value_kind:     by_value
      - .offset:         4
        .size:           4
        .value_kind:     by_value
      - .offset:         8
        .size:           4
        .value_kind:     by_value
      - .address_space:  global
        .offset:         16
        .size:           8
        .value_kind:     global_buffer
      - .offset:         24
        .size:           8
        .value_kind:     by_value
      - .offset:         32
        .size:           4
        .value_kind:     by_value
      - .offset:         40
        .size:           8
        .value_kind:     by_value
      - .offset:         48
        .size:           8
        .value_kind:     by_value
      - .address_space:  global
        .offset:         56
        .size:           8
        .value_kind:     global_buffer
      - .offset:         64
        .size:           8
        .value_kind:     by_value
      - .offset:         72
        .size:           4
        .value_kind:     by_value
      - .offset:         80
        .size:           8
        .value_kind:     by_value
      - .offset:         88
        .size:           8
        .value_kind:     by_value
      - .offset:         96
        .size:           4
        .value_kind:     by_value
    .group_segment_fixed_size: 16384
    .kernarg_segment_align: 8
    .kernarg_segment_size: 100
    .language:       OpenCL C
    .language_version:
      - 2
      - 0
    .max_flat_workgroup_size: 256
    .name:           _ZL29rocblas_trtri_diagonal_kernelILi16E19rocblas_complex_numIdEPKS1_PS1_Ev13rocblas_fill_17rocblas_diagonal_iT1_lillT2_lilli
    .private_segment_fixed_size: 0
    .sgpr_count:     55
    .sgpr_spill_count: 0
    .symbol:         _ZL29rocblas_trtri_diagonal_kernelILi16E19rocblas_complex_numIdEPKS1_PS1_Ev13rocblas_fill_17rocblas_diagonal_iT1_lillT2_lilli.kd
    .uniform_work_group_size: 1
    .uses_dynamic_stack: false
    .vgpr_count:     58
    .vgpr_spill_count: 0
    .wavefront_size: 32
    .workgroup_processor_mode: 1
  - .args:
      - .offset:         0
        .size:           4
        .value_kind:     by_value
      - .offset:         4
        .size:           4
        .value_kind:     by_value
      - .offset:         8
        .size:           4
        .value_kind:     by_value
      - .address_space:  global
        .offset:         16
        .size:           8
        .value_kind:     global_buffer
      - .offset:         24
        .size:           8
        .value_kind:     by_value
      - .offset:         32
        .size:           4
        .value_kind:     by_value
      - .offset:         40
        .size:           8
        .value_kind:     by_value
      - .offset:         48
        .size:           8
        .value_kind:     by_value
      - .address_space:  global
        .offset:         56
        .size:           8
        .value_kind:     global_buffer
      - .offset:         64
        .size:           8
        .value_kind:     by_value
      - .offset:         72
        .size:           4
        .value_kind:     by_value
      - .offset:         80
        .size:           8
        .value_kind:     by_value
      - .offset:         88
        .size:           8
        .value_kind:     by_value
      - .offset:         96
        .size:           4
        .value_kind:     by_value
    .group_segment_fixed_size: 16384
    .kernarg_segment_align: 8
    .kernarg_segment_size: 100
    .language:       OpenCL C
    .language_version:
      - 2
      - 0
    .max_flat_workgroup_size: 1024
    .name:           _ZL30rocblas_trtri_remainder_kernelILi16E19rocblas_complex_numIdEPKS1_PS1_Ev13rocblas_fill_17rocblas_diagonal_iT1_lillT2_lilli
    .private_segment_fixed_size: 0
    .sgpr_count:     42
    .sgpr_spill_count: 0
    .symbol:         _ZL30rocblas_trtri_remainder_kernelILi16E19rocblas_complex_numIdEPKS1_PS1_Ev13rocblas_fill_17rocblas_diagonal_iT1_lillT2_lilli.kd
    .uniform_work_group_size: 1
    .uses_dynamic_stack: false
    .vgpr_count:     32
    .vgpr_spill_count: 0
    .wavefront_size: 32
    .workgroup_processor_mode: 1
  - .args:
      - .address_space:  global
        .offset:         0
        .size:           8
        .value_kind:     global_buffer
      - .offset:         8
        .size:           4
        .value_kind:     by_value
      - .offset:         12
        .size:           4
        .value_kind:     by_value
      - .offset:         16
        .size:           8
        .value_kind:     by_value
      - .offset:         24
        .size:           4
        .value_kind:     by_value
      - .offset:         32
        .size:           8
        .value_kind:     by_value
      - .address_space:  global
        .offset:         40
        .size:           8
        .value_kind:     global_buffer
      - .offset:         48
        .size:           8
        .value_kind:     by_value
      - .offset:         56
        .size:           8
        .value_kind:     by_value
      - .offset:         64
        .size:           4
        .value_kind:     by_value
      - .offset:         68
        .size:           4
        .value_kind:     by_value
      - .offset:         72
        .size:           4
        .value_kind:     hidden_block_count_x
      - .offset:         76
        .size:           4
        .value_kind:     hidden_block_count_y
      - .offset:         80
        .size:           4
        .value_kind:     hidden_block_count_z
      - .offset:         84
        .size:           2
        .value_kind:     hidden_group_size_x
      - .offset:         86
        .size:           2
        .value_kind:     hidden_group_size_y
      - .offset:         88
        .size:           2
        .value_kind:     hidden_group_size_z
      - .offset:         90
        .size:           2
        .value_kind:     hidden_remainder_x
      - .offset:         92
        .size:           2
        .value_kind:     hidden_remainder_y
      - .offset:         94
        .size:           2
        .value_kind:     hidden_remainder_z
      - .offset:         112
        .size:           8
        .value_kind:     hidden_global_offset_x
      - .offset:         120
        .size:           8
        .value_kind:     hidden_global_offset_y
      - .offset:         128
        .size:           8
        .value_kind:     hidden_global_offset_z
      - .offset:         136
        .size:           2
        .value_kind:     hidden_grid_dims
    .group_segment_fixed_size: 0
    .kernarg_segment_align: 8
    .kernarg_segment_size: 328
    .language:       OpenCL C
    .language_version:
      - 2
      - 0
    .max_flat_workgroup_size: 128
    .name:           _ZL18rocblas_trtri_fillILi128EfPKPfEvP15_rocblas_handle13rocblas_fill_ililT1_llii
    .private_segment_fixed_size: 0
    .sgpr_count:     49
    .sgpr_spill_count: 0
    .symbol:         _ZL18rocblas_trtri_fillILi128EfPKPfEvP15_rocblas_handle13rocblas_fill_ililT1_llii.kd
    .uniform_work_group_size: 1
    .uses_dynamic_stack: false
    .vgpr_count:     26
    .vgpr_spill_count: 0
    .wavefront_size: 32
    .workgroup_processor_mode: 1
  - .args:
      - .offset:         0
        .size:           4
        .value_kind:     by_value
      - .offset:         4
        .size:           4
        .value_kind:     by_value
      - .offset:         8
        .size:           4
        .value_kind:     by_value
      - .address_space:  global
        .offset:         16
        .size:           8
        .value_kind:     global_buffer
      - .offset:         24
        .size:           8
        .value_kind:     by_value
      - .offset:         32
        .size:           4
        .value_kind:     by_value
      - .offset:         40
        .size:           8
        .value_kind:     by_value
      - .offset:         48
        .size:           8
        .value_kind:     by_value
      - .address_space:  global
        .offset:         56
        .size:           8
        .value_kind:     global_buffer
      - .offset:         64
        .size:           8
        .value_kind:     by_value
      - .offset:         72
        .size:           4
        .value_kind:     by_value
      - .offset:         80
        .size:           8
        .value_kind:     by_value
      - .offset:         88
        .size:           8
        .value_kind:     by_value
      - .offset:         96
        .size:           4
        .value_kind:     by_value
    .group_segment_fixed_size: 1024
    .kernarg_segment_align: 8
    .kernarg_segment_size: 100
    .language:       OpenCL C
    .language_version:
      - 2
      - 0
    .max_flat_workgroup_size: 16
    .name:           _ZL26rocblas_trtri_small_kernelILi16EfPKPKfPKPfEv13rocblas_fill_17rocblas_diagonal_iT1_lillT2_lilli
    .private_segment_fixed_size: 0
    .sgpr_count:     39
    .sgpr_spill_count: 0
    .symbol:         _ZL26rocblas_trtri_small_kernelILi16EfPKPKfPKPfEv13rocblas_fill_17rocblas_diagonal_iT1_lillT2_lilli.kd
    .uniform_work_group_size: 1
    .uses_dynamic_stack: false
    .vgpr_count:     20
    .vgpr_spill_count: 0
    .wavefront_size: 32
    .workgroup_processor_mode: 1
  - .args:
      - .offset:         0
        .size:           4
        .value_kind:     by_value
      - .offset:         4
        .size:           4
        .value_kind:     by_value
      - .offset:         8
        .size:           4
        .value_kind:     by_value
      - .address_space:  global
        .offset:         16
        .size:           8
        .value_kind:     global_buffer
      - .offset:         24
        .size:           8
        .value_kind:     by_value
      - .offset:         32
        .size:           4
        .value_kind:     by_value
      - .offset:         40
        .size:           8
        .value_kind:     by_value
      - .offset:         48
        .size:           8
        .value_kind:     by_value
      - .address_space:  global
        .offset:         56
        .size:           8
        .value_kind:     global_buffer
      - .offset:         64
        .size:           8
        .value_kind:     by_value
      - .offset:         72
        .size:           4
        .value_kind:     by_value
      - .offset:         80
        .size:           8
        .value_kind:     by_value
      - .offset:         88
        .size:           8
        .value_kind:     by_value
      - .offset:         96
        .size:           4
        .value_kind:     by_value
    .group_segment_fixed_size: 4096
    .kernarg_segment_align: 8
    .kernarg_segment_size: 100
    .language:       OpenCL C
    .language_version:
      - 2
      - 0
    .max_flat_workgroup_size: 256
    .name:           _ZL29rocblas_trtri_diagonal_kernelILi16EfPKPKfPKPfEv13rocblas_fill_17rocblas_diagonal_iT1_lillT2_lilli
    .private_segment_fixed_size: 0
    .sgpr_count:     54
    .sgpr_spill_count: 0
    .symbol:         _ZL29rocblas_trtri_diagonal_kernelILi16EfPKPKfPKPfEv13rocblas_fill_17rocblas_diagonal_iT1_lillT2_lilli.kd
    .uniform_work_group_size: 1
    .uses_dynamic_stack: false
    .vgpr_count:     51
    .vgpr_spill_count: 0
    .wavefront_size: 32
    .workgroup_processor_mode: 1
  - .args:
      - .offset:         0
        .size:           4
        .value_kind:     by_value
      - .offset:         4
        .size:           4
        .value_kind:     by_value
      - .offset:         8
        .size:           4
        .value_kind:     by_value
      - .address_space:  global
        .offset:         16
        .size:           8
        .value_kind:     global_buffer
      - .offset:         24
        .size:           8
        .value_kind:     by_value
      - .offset:         32
        .size:           4
        .value_kind:     by_value
      - .offset:         40
        .size:           8
        .value_kind:     by_value
      - .offset:         48
        .size:           8
        .value_kind:     by_value
      - .address_space:  global
        .offset:         56
        .size:           8
        .value_kind:     global_buffer
      - .offset:         64
        .size:           8
        .value_kind:     by_value
      - .offset:         72
        .size:           4
        .value_kind:     by_value
      - .offset:         80
        .size:           8
        .value_kind:     by_value
      - .offset:         88
        .size:           8
        .value_kind:     by_value
      - .offset:         96
        .size:           4
        .value_kind:     by_value
    .group_segment_fixed_size: 4096
    .kernarg_segment_align: 8
    .kernarg_segment_size: 100
    .language:       OpenCL C
    .language_version:
      - 2
      - 0
    .max_flat_workgroup_size: 1024
    .name:           _ZL30rocblas_trtri_remainder_kernelILi16EfPKPKfPKPfEv13rocblas_fill_17rocblas_diagonal_iT1_lillT2_lilli
    .private_segment_fixed_size: 0
    .sgpr_count:     39
    .sgpr_spill_count: 0
    .symbol:         _ZL30rocblas_trtri_remainder_kernelILi16EfPKPKfPKPfEv13rocblas_fill_17rocblas_diagonal_iT1_lillT2_lilli.kd
    .uniform_work_group_size: 1
    .uses_dynamic_stack: false
    .vgpr_count:     20
    .vgpr_spill_count: 0
    .wavefront_size: 32
    .workgroup_processor_mode: 1
  - .args:
      - .address_space:  global
        .offset:         0
        .size:           8
        .value_kind:     global_buffer
      - .offset:         8
        .size:           4
        .value_kind:     by_value
      - .offset:         12
        .size:           4
        .value_kind:     by_value
      - .offset:         16
        .size:           8
        .value_kind:     by_value
      - .offset:         24
        .size:           4
        .value_kind:     by_value
      - .offset:         32
        .size:           8
        .value_kind:     by_value
      - .address_space:  global
        .offset:         40
        .size:           8
        .value_kind:     global_buffer
      - .offset:         48
        .size:           8
        .value_kind:     by_value
      - .offset:         56
        .size:           8
        .value_kind:     by_value
      - .offset:         64
        .size:           4
        .value_kind:     by_value
      - .offset:         68
        .size:           4
        .value_kind:     by_value
      - .offset:         72
        .size:           4
        .value_kind:     hidden_block_count_x
      - .offset:         76
        .size:           4
        .value_kind:     hidden_block_count_y
      - .offset:         80
        .size:           4
        .value_kind:     hidden_block_count_z
      - .offset:         84
        .size:           2
        .value_kind:     hidden_group_size_x
      - .offset:         86
        .size:           2
        .value_kind:     hidden_group_size_y
      - .offset:         88
        .size:           2
        .value_kind:     hidden_group_size_z
      - .offset:         90
        .size:           2
        .value_kind:     hidden_remainder_x
      - .offset:         92
        .size:           2
        .value_kind:     hidden_remainder_y
      - .offset:         94
        .size:           2
        .value_kind:     hidden_remainder_z
      - .offset:         112
        .size:           8
        .value_kind:     hidden_global_offset_x
      - .offset:         120
        .size:           8
        .value_kind:     hidden_global_offset_y
      - .offset:         128
        .size:           8
        .value_kind:     hidden_global_offset_z
      - .offset:         136
        .size:           2
        .value_kind:     hidden_grid_dims
    .group_segment_fixed_size: 0
    .kernarg_segment_align: 8
    .kernarg_segment_size: 328
    .language:       OpenCL C
    .language_version:
      - 2
      - 0
    .max_flat_workgroup_size: 128
    .name:           _ZL18rocblas_trtri_fillILi128EdPKPdEvP15_rocblas_handle13rocblas_fill_ililT1_llii
    .private_segment_fixed_size: 0
    .sgpr_count:     49
    .sgpr_spill_count: 0
    .symbol:         _ZL18rocblas_trtri_fillILi128EdPKPdEvP15_rocblas_handle13rocblas_fill_ililT1_llii.kd
    .uniform_work_group_size: 1
    .uses_dynamic_stack: false
    .vgpr_count:     26
    .vgpr_spill_count: 0
    .wavefront_size: 32
    .workgroup_processor_mode: 1
  - .args:
      - .offset:         0
        .size:           4
        .value_kind:     by_value
      - .offset:         4
        .size:           4
        .value_kind:     by_value
      - .offset:         8
        .size:           4
        .value_kind:     by_value
      - .address_space:  global
        .offset:         16
        .size:           8
        .value_kind:     global_buffer
      - .offset:         24
        .size:           8
        .value_kind:     by_value
      - .offset:         32
        .size:           4
        .value_kind:     by_value
      - .offset:         40
        .size:           8
        .value_kind:     by_value
      - .offset:         48
        .size:           8
        .value_kind:     by_value
      - .address_space:  global
        .offset:         56
        .size:           8
        .value_kind:     global_buffer
      - .offset:         64
        .size:           8
        .value_kind:     by_value
      - .offset:         72
        .size:           4
        .value_kind:     by_value
      - .offset:         80
        .size:           8
        .value_kind:     by_value
      - .offset:         88
        .size:           8
        .value_kind:     by_value
      - .offset:         96
        .size:           4
        .value_kind:     by_value
    .group_segment_fixed_size: 2048
    .kernarg_segment_align: 8
    .kernarg_segment_size: 100
    .language:       OpenCL C
    .language_version:
      - 2
      - 0
    .max_flat_workgroup_size: 16
    .name:           _ZL26rocblas_trtri_small_kernelILi16EdPKPKdPKPdEv13rocblas_fill_17rocblas_diagonal_iT1_lillT2_lilli
    .private_segment_fixed_size: 0
    .sgpr_count:     39
    .sgpr_spill_count: 0
    .symbol:         _ZL26rocblas_trtri_small_kernelILi16EdPKPKdPKPdEv13rocblas_fill_17rocblas_diagonal_iT1_lillT2_lilli.kd
    .uniform_work_group_size: 1
    .uses_dynamic_stack: false
    .vgpr_count:     24
    .vgpr_spill_count: 0
    .wavefront_size: 32
    .workgroup_processor_mode: 1
  - .args:
      - .offset:         0
        .size:           4
        .value_kind:     by_value
      - .offset:         4
        .size:           4
        .value_kind:     by_value
      - .offset:         8
        .size:           4
        .value_kind:     by_value
      - .address_space:  global
        .offset:         16
        .size:           8
        .value_kind:     global_buffer
      - .offset:         24
        .size:           8
        .value_kind:     by_value
      - .offset:         32
        .size:           4
        .value_kind:     by_value
      - .offset:         40
        .size:           8
        .value_kind:     by_value
      - .offset:         48
        .size:           8
        .value_kind:     by_value
      - .address_space:  global
        .offset:         56
        .size:           8
        .value_kind:     global_buffer
      - .offset:         64
        .size:           8
        .value_kind:     by_value
      - .offset:         72
        .size:           4
        .value_kind:     by_value
      - .offset:         80
        .size:           8
        .value_kind:     by_value
      - .offset:         88
        .size:           8
        .value_kind:     by_value
      - .offset:         96
        .size:           4
        .value_kind:     by_value
    .group_segment_fixed_size: 8192
    .kernarg_segment_align: 8
    .kernarg_segment_size: 100
    .language:       OpenCL C
    .language_version:
      - 2
      - 0
    .max_flat_workgroup_size: 256
    .name:           _ZL29rocblas_trtri_diagonal_kernelILi16EdPKPKdPKPdEv13rocblas_fill_17rocblas_diagonal_iT1_lillT2_lilli
    .private_segment_fixed_size: 0
    .sgpr_count:     54
    .sgpr_spill_count: 0
    .symbol:         _ZL29rocblas_trtri_diagonal_kernelILi16EdPKPKdPKPdEv13rocblas_fill_17rocblas_diagonal_iT1_lillT2_lilli.kd
    .uniform_work_group_size: 1
    .uses_dynamic_stack: false
    .vgpr_count:     54
    .vgpr_spill_count: 0
    .wavefront_size: 32
    .workgroup_processor_mode: 1
  - .args:
      - .offset:         0
        .size:           4
        .value_kind:     by_value
      - .offset:         4
        .size:           4
        .value_kind:     by_value
      - .offset:         8
        .size:           4
        .value_kind:     by_value
      - .address_space:  global
        .offset:         16
        .size:           8
        .value_kind:     global_buffer
      - .offset:         24
        .size:           8
        .value_kind:     by_value
      - .offset:         32
        .size:           4
        .value_kind:     by_value
      - .offset:         40
        .size:           8
        .value_kind:     by_value
      - .offset:         48
        .size:           8
        .value_kind:     by_value
      - .address_space:  global
        .offset:         56
        .size:           8
        .value_kind:     global_buffer
      - .offset:         64
        .size:           8
        .value_kind:     by_value
      - .offset:         72
        .size:           4
        .value_kind:     by_value
      - .offset:         80
        .size:           8
        .value_kind:     by_value
      - .offset:         88
        .size:           8
        .value_kind:     by_value
      - .offset:         96
        .size:           4
        .value_kind:     by_value
    .group_segment_fixed_size: 8192
    .kernarg_segment_align: 8
    .kernarg_segment_size: 100
    .language:       OpenCL C
    .language_version:
      - 2
      - 0
    .max_flat_workgroup_size: 1024
    .name:           _ZL30rocblas_trtri_remainder_kernelILi16EdPKPKdPKPdEv13rocblas_fill_17rocblas_diagonal_iT1_lillT2_lilli
    .private_segment_fixed_size: 0
    .sgpr_count:     39
    .sgpr_spill_count: 0
    .symbol:         _ZL30rocblas_trtri_remainder_kernelILi16EdPKPKdPKPdEv13rocblas_fill_17rocblas_diagonal_iT1_lillT2_lilli.kd
    .uniform_work_group_size: 1
    .uses_dynamic_stack: false
    .vgpr_count:     24
    .vgpr_spill_count: 0
    .wavefront_size: 32
    .workgroup_processor_mode: 1
  - .args:
      - .address_space:  global
        .offset:         0
        .size:           8
        .value_kind:     global_buffer
      - .offset:         8
        .size:           4
        .value_kind:     by_value
      - .offset:         12
        .size:           4
        .value_kind:     by_value
      - .offset:         16
        .size:           8
        .value_kind:     by_value
      - .offset:         24
        .size:           4
        .value_kind:     by_value
      - .offset:         32
        .size:           8
        .value_kind:     by_value
      - .address_space:  global
        .offset:         40
        .size:           8
        .value_kind:     global_buffer
      - .offset:         48
        .size:           8
        .value_kind:     by_value
      - .offset:         56
        .size:           8
        .value_kind:     by_value
      - .offset:         64
        .size:           4
        .value_kind:     by_value
      - .offset:         68
        .size:           4
        .value_kind:     by_value
      - .offset:         72
        .size:           4
        .value_kind:     hidden_block_count_x
      - .offset:         76
        .size:           4
        .value_kind:     hidden_block_count_y
      - .offset:         80
        .size:           4
        .value_kind:     hidden_block_count_z
      - .offset:         84
        .size:           2
        .value_kind:     hidden_group_size_x
      - .offset:         86
        .size:           2
        .value_kind:     hidden_group_size_y
      - .offset:         88
        .size:           2
        .value_kind:     hidden_group_size_z
      - .offset:         90
        .size:           2
        .value_kind:     hidden_remainder_x
      - .offset:         92
        .size:           2
        .value_kind:     hidden_remainder_y
      - .offset:         94
        .size:           2
        .value_kind:     hidden_remainder_z
      - .offset:         112
        .size:           8
        .value_kind:     hidden_global_offset_x
      - .offset:         120
        .size:           8
        .value_kind:     hidden_global_offset_y
      - .offset:         128
        .size:           8
        .value_kind:     hidden_global_offset_z
      - .offset:         136
        .size:           2
        .value_kind:     hidden_grid_dims
    .group_segment_fixed_size: 0
    .kernarg_segment_align: 8
    .kernarg_segment_size: 328
    .language:       OpenCL C
    .language_version:
      - 2
      - 0
    .max_flat_workgroup_size: 128
    .name:           _ZL18rocblas_trtri_fillILi128E19rocblas_complex_numIfEPKPS1_EvP15_rocblas_handle13rocblas_fill_ililT1_llii
    .private_segment_fixed_size: 0
    .sgpr_count:     49
    .sgpr_spill_count: 0
    .symbol:         _ZL18rocblas_trtri_fillILi128E19rocblas_complex_numIfEPKPS1_EvP15_rocblas_handle13rocblas_fill_ililT1_llii.kd
    .uniform_work_group_size: 1
    .uses_dynamic_stack: false
    .vgpr_count:     26
    .vgpr_spill_count: 0
    .wavefront_size: 32
    .workgroup_processor_mode: 1
  - .args:
      - .offset:         0
        .size:           4
        .value_kind:     by_value
      - .offset:         4
        .size:           4
        .value_kind:     by_value
      - .offset:         8
        .size:           4
        .value_kind:     by_value
      - .address_space:  global
        .offset:         16
        .size:           8
        .value_kind:     global_buffer
      - .offset:         24
        .size:           8
        .value_kind:     by_value
      - .offset:         32
        .size:           4
        .value_kind:     by_value
      - .offset:         40
        .size:           8
        .value_kind:     by_value
      - .offset:         48
        .size:           8
        .value_kind:     by_value
      - .address_space:  global
        .offset:         56
        .size:           8
        .value_kind:     global_buffer
      - .offset:         64
        .size:           8
        .value_kind:     by_value
      - .offset:         72
        .size:           4
        .value_kind:     by_value
      - .offset:         80
        .size:           8
        .value_kind:     by_value
      - .offset:         88
        .size:           8
        .value_kind:     by_value
      - .offset:         96
        .size:           4
        .value_kind:     by_value
    .group_segment_fixed_size: 2048
    .kernarg_segment_align: 8
    .kernarg_segment_size: 100
    .language:       OpenCL C
    .language_version:
      - 2
      - 0
    .max_flat_workgroup_size: 16
    .name:           _ZL26rocblas_trtri_small_kernelILi16E19rocblas_complex_numIfEPKPKS1_PKPS1_Ev13rocblas_fill_17rocblas_diagonal_iT1_lillT2_lilli
    .private_segment_fixed_size: 0
    .sgpr_count:     39
    .sgpr_spill_count: 0
    .symbol:         _ZL26rocblas_trtri_small_kernelILi16E19rocblas_complex_numIfEPKPKS1_PKPS1_Ev13rocblas_fill_17rocblas_diagonal_iT1_lillT2_lilli.kd
    .uniform_work_group_size: 1
    .uses_dynamic_stack: false
    .vgpr_count:     25
    .vgpr_spill_count: 0
    .wavefront_size: 32
    .workgroup_processor_mode: 1
  - .args:
      - .offset:         0
        .size:           4
        .value_kind:     by_value
      - .offset:         4
        .size:           4
        .value_kind:     by_value
      - .offset:         8
        .size:           4
        .value_kind:     by_value
      - .address_space:  global
        .offset:         16
        .size:           8
        .value_kind:     global_buffer
      - .offset:         24
        .size:           8
        .value_kind:     by_value
      - .offset:         32
        .size:           4
        .value_kind:     by_value
      - .offset:         40
        .size:           8
        .value_kind:     by_value
      - .offset:         48
        .size:           8
        .value_kind:     by_value
      - .address_space:  global
        .offset:         56
        .size:           8
        .value_kind:     global_buffer
      - .offset:         64
        .size:           8
        .value_kind:     by_value
      - .offset:         72
        .size:           4
        .value_kind:     by_value
      - .offset:         80
        .size:           8
        .value_kind:     by_value
      - .offset:         88
        .size:           8
        .value_kind:     by_value
      - .offset:         96
        .size:           4
        .value_kind:     by_value
    .group_segment_fixed_size: 8192
    .kernarg_segment_align: 8
    .kernarg_segment_size: 100
    .language:       OpenCL C
    .language_version:
      - 2
      - 0
    .max_flat_workgroup_size: 256
    .name:           _ZL29rocblas_trtri_diagonal_kernelILi16E19rocblas_complex_numIfEPKPKS1_PKPS1_Ev13rocblas_fill_17rocblas_diagonal_iT1_lillT2_lilli
    .private_segment_fixed_size: 0
    .sgpr_count:     54
    .sgpr_spill_count: 0
    .symbol:         _ZL29rocblas_trtri_diagonal_kernelILi16E19rocblas_complex_numIfEPKPKS1_PKPS1_Ev13rocblas_fill_17rocblas_diagonal_iT1_lillT2_lilli.kd
    .uniform_work_group_size: 1
    .uses_dynamic_stack: false
    .vgpr_count:     55
    .vgpr_spill_count: 0
    .wavefront_size: 32
    .workgroup_processor_mode: 1
  - .args:
      - .offset:         0
        .size:           4
        .value_kind:     by_value
      - .offset:         4
        .size:           4
        .value_kind:     by_value
      - .offset:         8
        .size:           4
        .value_kind:     by_value
      - .address_space:  global
        .offset:         16
        .size:           8
        .value_kind:     global_buffer
      - .offset:         24
        .size:           8
        .value_kind:     by_value
      - .offset:         32
        .size:           4
        .value_kind:     by_value
      - .offset:         40
        .size:           8
        .value_kind:     by_value
      - .offset:         48
        .size:           8
        .value_kind:     by_value
      - .address_space:  global
        .offset:         56
        .size:           8
        .value_kind:     global_buffer
      - .offset:         64
        .size:           8
        .value_kind:     by_value
      - .offset:         72
        .size:           4
        .value_kind:     by_value
      - .offset:         80
        .size:           8
        .value_kind:     by_value
      - .offset:         88
        .size:           8
        .value_kind:     by_value
      - .offset:         96
        .size:           4
        .value_kind:     by_value
    .group_segment_fixed_size: 8192
    .kernarg_segment_align: 8
    .kernarg_segment_size: 100
    .language:       OpenCL C
    .language_version:
      - 2
      - 0
    .max_flat_workgroup_size: 1024
    .name:           _ZL30rocblas_trtri_remainder_kernelILi16E19rocblas_complex_numIfEPKPKS1_PKPS1_Ev13rocblas_fill_17rocblas_diagonal_iT1_lillT2_lilli
    .private_segment_fixed_size: 0
    .sgpr_count:     39
    .sgpr_spill_count: 0
    .symbol:         _ZL30rocblas_trtri_remainder_kernelILi16E19rocblas_complex_numIfEPKPKS1_PKPS1_Ev13rocblas_fill_17rocblas_diagonal_iT1_lillT2_lilli.kd
    .uniform_work_group_size: 1
    .uses_dynamic_stack: false
    .vgpr_count:     25
    .vgpr_spill_count: 0
    .wavefront_size: 32
    .workgroup_processor_mode: 1
  - .args:
      - .address_space:  global
        .offset:         0
        .size:           8
        .value_kind:     global_buffer
      - .offset:         8
        .size:           4
        .value_kind:     by_value
      - .offset:         12
        .size:           4
        .value_kind:     by_value
      - .offset:         16
        .size:           8
        .value_kind:     by_value
      - .offset:         24
        .size:           4
        .value_kind:     by_value
      - .offset:         32
        .size:           8
        .value_kind:     by_value
      - .address_space:  global
        .offset:         40
        .size:           8
        .value_kind:     global_buffer
      - .offset:         48
        .size:           8
        .value_kind:     by_value
      - .offset:         56
        .size:           8
        .value_kind:     by_value
      - .offset:         64
        .size:           4
        .value_kind:     by_value
      - .offset:         68
        .size:           4
        .value_kind:     by_value
      - .offset:         72
        .size:           4
        .value_kind:     hidden_block_count_x
      - .offset:         76
        .size:           4
        .value_kind:     hidden_block_count_y
      - .offset:         80
        .size:           4
        .value_kind:     hidden_block_count_z
      - .offset:         84
        .size:           2
        .value_kind:     hidden_group_size_x
      - .offset:         86
        .size:           2
        .value_kind:     hidden_group_size_y
      - .offset:         88
        .size:           2
        .value_kind:     hidden_group_size_z
      - .offset:         90
        .size:           2
        .value_kind:     hidden_remainder_x
      - .offset:         92
        .size:           2
        .value_kind:     hidden_remainder_y
      - .offset:         94
        .size:           2
        .value_kind:     hidden_remainder_z
      - .offset:         112
        .size:           8
        .value_kind:     hidden_global_offset_x
      - .offset:         120
        .size:           8
        .value_kind:     hidden_global_offset_y
      - .offset:         128
        .size:           8
        .value_kind:     hidden_global_offset_z
      - .offset:         136
        .size:           2
        .value_kind:     hidden_grid_dims
    .group_segment_fixed_size: 0
    .kernarg_segment_align: 8
    .kernarg_segment_size: 328
    .language:       OpenCL C
    .language_version:
      - 2
      - 0
    .max_flat_workgroup_size: 128
    .name:           _ZL18rocblas_trtri_fillILi128E19rocblas_complex_numIdEPKPS1_EvP15_rocblas_handle13rocblas_fill_ililT1_llii
    .private_segment_fixed_size: 0
    .sgpr_count:     49
    .sgpr_spill_count: 0
    .symbol:         _ZL18rocblas_trtri_fillILi128E19rocblas_complex_numIdEPKPS1_EvP15_rocblas_handle13rocblas_fill_ililT1_llii.kd
    .uniform_work_group_size: 1
    .uses_dynamic_stack: false
    .vgpr_count:     26
    .vgpr_spill_count: 0
    .wavefront_size: 32
    .workgroup_processor_mode: 1
  - .args:
      - .offset:         0
        .size:           4
        .value_kind:     by_value
      - .offset:         4
        .size:           4
        .value_kind:     by_value
      - .offset:         8
        .size:           4
        .value_kind:     by_value
      - .address_space:  global
        .offset:         16
        .size:           8
        .value_kind:     global_buffer
      - .offset:         24
        .size:           8
        .value_kind:     by_value
      - .offset:         32
        .size:           4
        .value_kind:     by_value
      - .offset:         40
        .size:           8
        .value_kind:     by_value
      - .offset:         48
        .size:           8
        .value_kind:     by_value
      - .address_space:  global
        .offset:         56
        .size:           8
        .value_kind:     global_buffer
      - .offset:         64
        .size:           8
        .value_kind:     by_value
      - .offset:         72
        .size:           4
        .value_kind:     by_value
      - .offset:         80
        .size:           8
        .value_kind:     by_value
      - .offset:         88
        .size:           8
        .value_kind:     by_value
      - .offset:         96
        .size:           4
        .value_kind:     by_value
    .group_segment_fixed_size: 4096
    .kernarg_segment_align: 8
    .kernarg_segment_size: 100
    .language:       OpenCL C
    .language_version:
      - 2
      - 0
    .max_flat_workgroup_size: 16
    .name:           _ZL26rocblas_trtri_small_kernelILi16E19rocblas_complex_numIdEPKPKS1_PKPS1_Ev13rocblas_fill_17rocblas_diagonal_iT1_lillT2_lilli
    .private_segment_fixed_size: 0
    .sgpr_count:     39
    .sgpr_spill_count: 0
    .symbol:         _ZL26rocblas_trtri_small_kernelILi16E19rocblas_complex_numIdEPKPKS1_PKPS1_Ev13rocblas_fill_17rocblas_diagonal_iT1_lillT2_lilli.kd
    .uniform_work_group_size: 1
    .uses_dynamic_stack: false
    .vgpr_count:     32
    .vgpr_spill_count: 0
    .wavefront_size: 32
    .workgroup_processor_mode: 1
  - .args:
      - .offset:         0
        .size:           4
        .value_kind:     by_value
      - .offset:         4
        .size:           4
        .value_kind:     by_value
      - .offset:         8
        .size:           4
        .value_kind:     by_value
      - .address_space:  global
        .offset:         16
        .size:           8
        .value_kind:     global_buffer
      - .offset:         24
        .size:           8
        .value_kind:     by_value
      - .offset:         32
        .size:           4
        .value_kind:     by_value
      - .offset:         40
        .size:           8
        .value_kind:     by_value
      - .offset:         48
        .size:           8
        .value_kind:     by_value
      - .address_space:  global
        .offset:         56
        .size:           8
        .value_kind:     global_buffer
      - .offset:         64
        .size:           8
        .value_kind:     by_value
      - .offset:         72
        .size:           4
        .value_kind:     by_value
      - .offset:         80
        .size:           8
        .value_kind:     by_value
      - .offset:         88
        .size:           8
        .value_kind:     by_value
      - .offset:         96
        .size:           4
        .value_kind:     by_value
    .group_segment_fixed_size: 16384
    .kernarg_segment_align: 8
    .kernarg_segment_size: 100
    .language:       OpenCL C
    .language_version:
      - 2
      - 0
    .max_flat_workgroup_size: 256
    .name:           _ZL29rocblas_trtri_diagonal_kernelILi16E19rocblas_complex_numIdEPKPKS1_PKPS1_Ev13rocblas_fill_17rocblas_diagonal_iT1_lillT2_lilli
    .private_segment_fixed_size: 0
    .sgpr_count:     54
    .sgpr_spill_count: 0
    .symbol:         _ZL29rocblas_trtri_diagonal_kernelILi16E19rocblas_complex_numIdEPKPKS1_PKPS1_Ev13rocblas_fill_17rocblas_diagonal_iT1_lillT2_lilli.kd
    .uniform_work_group_size: 1
    .uses_dynamic_stack: false
    .vgpr_count:     61
    .vgpr_spill_count: 0
    .wavefront_size: 32
    .workgroup_processor_mode: 1
  - .args:
      - .offset:         0
        .size:           4
        .value_kind:     by_value
      - .offset:         4
        .size:           4
        .value_kind:     by_value
      - .offset:         8
        .size:           4
        .value_kind:     by_value
      - .address_space:  global
        .offset:         16
        .size:           8
        .value_kind:     global_buffer
      - .offset:         24
        .size:           8
        .value_kind:     by_value
      - .offset:         32
        .size:           4
        .value_kind:     by_value
      - .offset:         40
        .size:           8
        .value_kind:     by_value
      - .offset:         48
        .size:           8
        .value_kind:     by_value
      - .address_space:  global
        .offset:         56
        .size:           8
        .value_kind:     global_buffer
      - .offset:         64
        .size:           8
        .value_kind:     by_value
      - .offset:         72
        .size:           4
        .value_kind:     by_value
      - .offset:         80
        .size:           8
        .value_kind:     by_value
      - .offset:         88
        .size:           8
        .value_kind:     by_value
      - .offset:         96
        .size:           4
        .value_kind:     by_value
    .group_segment_fixed_size: 16384
    .kernarg_segment_align: 8
    .kernarg_segment_size: 100
    .language:       OpenCL C
    .language_version:
      - 2
      - 0
    .max_flat_workgroup_size: 1024
    .name:           _ZL30rocblas_trtri_remainder_kernelILi16E19rocblas_complex_numIdEPKPKS1_PKPS1_Ev13rocblas_fill_17rocblas_diagonal_iT1_lillT2_lilli
    .private_segment_fixed_size: 0
    .sgpr_count:     39
    .sgpr_spill_count: 0
    .symbol:         _ZL30rocblas_trtri_remainder_kernelILi16E19rocblas_complex_numIdEPKPKS1_PKPS1_Ev13rocblas_fill_17rocblas_diagonal_iT1_lillT2_lilli.kd
    .uniform_work_group_size: 1
    .uses_dynamic_stack: false
    .vgpr_count:     32
    .vgpr_spill_count: 0
    .wavefront_size: 32
    .workgroup_processor_mode: 1
amdhsa.target:   amdgcn-amd-amdhsa--gfx1201
amdhsa.version:
  - 1
  - 2
...

	.end_amdgpu_metadata
